;; amdgpu-corpus repo=ROCm/rocFFT kind=compiled arch=gfx906 opt=O3
	.text
	.amdgcn_target "amdgcn-amd-amdhsa--gfx906"
	.amdhsa_code_object_version 6
	.protected	bluestein_single_fwd_len1155_dim1_half_op_CI_CI ; -- Begin function bluestein_single_fwd_len1155_dim1_half_op_CI_CI
	.globl	bluestein_single_fwd_len1155_dim1_half_op_CI_CI
	.p2align	8
	.type	bluestein_single_fwd_len1155_dim1_half_op_CI_CI,@function
bluestein_single_fwd_len1155_dim1_half_op_CI_CI: ; @bluestein_single_fwd_len1155_dim1_half_op_CI_CI
; %bb.0:
	s_load_dwordx4 s[8:11], s[4:5], 0x28
	v_mul_u32_u24_e32 v1, 0x4a8, v0
	v_add_u32_sdwa v30, s6, v1 dst_sel:DWORD dst_unused:UNUSED_PAD src0_sel:DWORD src1_sel:WORD_1
	v_mov_b32_e32 v31, 0
	s_waitcnt lgkmcnt(0)
	v_cmp_gt_u64_e32 vcc, s[8:9], v[30:31]
	s_and_saveexec_b64 s[0:1], vcc
	s_cbranch_execz .LBB0_23
; %bb.1:
	s_load_dwordx4 s[0:3], s[4:5], 0x18
	s_load_dwordx2 s[16:17], s[4:5], 0x0
	v_mov_b32_e32 v2, 55
	v_mul_lo_u16_sdwa v1, v1, v2 dst_sel:DWORD dst_unused:UNUSED_PAD src0_sel:WORD_1 src1_sel:DWORD
	v_sub_u16_e32 v84, v0, v1
	s_waitcnt lgkmcnt(0)
	s_load_dwordx4 s[12:15], s[0:1], 0x0
	v_lshlrev_b32_e32 v73, 2, v84
	global_load_dword v85, v73, s[16:17]
	v_add_co_u32_e64 v28, s[6:7], s16, v73
	s_waitcnt lgkmcnt(0)
	v_mad_u64_u32 v[0:1], s[0:1], s14, v30, 0
	v_mad_u64_u32 v[2:3], s[0:1], s12, v84, 0
	;; [unrolled: 1-line block ×4, first 2 shown]
	v_mov_b32_e32 v1, v4
	v_lshlrev_b64 v[0:1], 2, v[0:1]
	v_mov_b32_e32 v6, s11
	v_mov_b32_e32 v3, v5
	v_add_co_u32_e32 v4, vcc, s10, v0
	v_addc_co_u32_e32 v5, vcc, v6, v1, vcc
	v_lshlrev_b64 v[0:1], 2, v[2:3]
	s_mul_i32 s0, s13, 0x69
	v_add_co_u32_e32 v0, vcc, v4, v0
	v_addc_co_u32_e32 v1, vcc, v5, v1, vcc
	global_load_dword v4, v[0:1], off
	s_mul_hi_u32 s1, s12, 0x69
	s_add_i32 s1, s1, s0
	s_mul_i32 s0, s12, 0x69
	s_lshl_b64 s[18:19], s[0:1], 2
	v_mov_b32_e32 v3, s19
	v_add_co_u32_e32 v0, vcc, s18, v0
	v_addc_co_u32_e32 v1, vcc, v1, v3, vcc
	global_load_dword v5, v[0:1], off
	global_load_dword v83, v73, s[16:17] offset:420
	v_add_co_u32_e32 v0, vcc, s18, v0
	v_addc_co_u32_e32 v1, vcc, v1, v3, vcc
	global_load_dword v6, v[0:1], off
	global_load_dword v82, v73, s[16:17] offset:840
	v_add_co_u32_e32 v0, vcc, s18, v0
	v_addc_co_u32_e32 v1, vcc, v1, v3, vcc
	v_mov_b32_e32 v2, s17
	global_load_dword v7, v[0:1], off
	global_load_dword v81, v73, s[16:17] offset:1260
	v_addc_co_u32_e64 v29, vcc, 0, v2, s[6:7]
	v_add_co_u32_e32 v0, vcc, s18, v0
	v_addc_co_u32_e32 v1, vcc, v1, v3, vcc
	global_load_dword v8, v[0:1], off
	global_load_dword v80, v73, s[16:17] offset:1680
	v_add_co_u32_e32 v0, vcc, s18, v0
	v_addc_co_u32_e32 v1, vcc, v1, v3, vcc
	global_load_dword v9, v[0:1], off
	global_load_dword v79, v73, s[16:17] offset:2100
	;; [unrolled: 4-line block ×4, first 2 shown]
	v_add_co_u32_e32 v0, vcc, s18, v0
	v_addc_co_u32_e32 v1, vcc, v1, v3, vcc
	global_load_dword v12, v[0:1], off
	v_add_co_u32_e32 v0, vcc, s18, v0
	v_addc_co_u32_e32 v1, vcc, v1, v3, vcc
	global_load_dword v76, v73, s[16:17] offset:3360
	global_load_dword v13, v[0:1], off
	global_load_dword v75, v73, s[16:17] offset:3780
	v_add_co_u32_e32 v0, vcc, s18, v0
	v_addc_co_u32_e32 v1, vcc, v1, v3, vcc
	s_movk_i32 s0, 0x1000
	v_add_co_u32_e32 v2, vcc, s0, v28
	global_load_dword v14, v[0:1], off
	v_addc_co_u32_e32 v3, vcc, 0, v29, vcc
	global_load_dword v74, v[2:3], off offset:104
	s_load_dwordx2 s[14:15], s[4:5], 0x38
	s_load_dwordx4 s[8:11], s[2:3], 0x0
	v_cmp_gt_u16_e64 s[0:1], 50, v84
	s_waitcnt vmcnt(20)
	v_lshrrev_b32_e32 v2, 16, v4
	v_mul_f16_sdwa v3, v85, v2 dst_sel:DWORD dst_unused:UNUSED_PAD src0_sel:WORD_1 src1_sel:DWORD
	v_fma_f16 v3, v85, v4, v3
	v_mul_f16_sdwa v4, v85, v4 dst_sel:DWORD dst_unused:UNUSED_PAD src0_sel:WORD_1 src1_sel:DWORD
	v_fma_f16 v2, v85, v2, -v4
	v_pack_b32_f16 v2, v3, v2
	s_waitcnt vmcnt(19)
	v_lshrrev_b32_e32 v3, 16, v5
	s_waitcnt vmcnt(18)
	v_mul_f16_sdwa v4, v83, v3 dst_sel:DWORD dst_unused:UNUSED_PAD src0_sel:WORD_1 src1_sel:DWORD
	v_fma_f16 v4, v83, v5, v4
	v_mul_f16_sdwa v5, v83, v5 dst_sel:DWORD dst_unused:UNUSED_PAD src0_sel:WORD_1 src1_sel:DWORD
	v_fma_f16 v3, v83, v3, -v5
	v_pack_b32_f16 v3, v4, v3
	ds_write2_b32 v73, v2, v3 offset1:105
	s_waitcnt vmcnt(17)
	v_lshrrev_b32_e32 v2, 16, v6
	s_waitcnt vmcnt(16)
	v_mul_f16_sdwa v3, v82, v2 dst_sel:DWORD dst_unused:UNUSED_PAD src0_sel:WORD_1 src1_sel:DWORD
	v_mul_f16_sdwa v4, v82, v6 dst_sel:DWORD dst_unused:UNUSED_PAD src0_sel:WORD_1 src1_sel:DWORD
	v_fma_f16 v3, v82, v6, v3
	v_fma_f16 v2, v82, v2, -v4
	v_pack_b32_f16 v3, v3, v2
	s_waitcnt vmcnt(15)
	v_lshrrev_b32_e32 v2, 16, v7
	s_waitcnt vmcnt(14)
	v_mul_f16_sdwa v4, v81, v2 dst_sel:DWORD dst_unused:UNUSED_PAD src0_sel:WORD_1 src1_sel:DWORD
	v_mul_f16_sdwa v5, v81, v7 dst_sel:DWORD dst_unused:UNUSED_PAD src0_sel:WORD_1 src1_sel:DWORD
	v_fma_f16 v4, v81, v7, v4
	v_fma_f16 v2, v81, v2, -v5
	v_pack_b32_f16 v4, v4, v2
	v_add_u32_e32 v2, 0x200, v73
	ds_write2_b32 v2, v3, v4 offset0:82 offset1:187
	s_waitcnt vmcnt(13)
	v_lshrrev_b32_e32 v3, 16, v8
	s_waitcnt vmcnt(12)
	v_mul_f16_sdwa v4, v80, v3 dst_sel:DWORD dst_unused:UNUSED_PAD src0_sel:WORD_1 src1_sel:DWORD
	v_mul_f16_sdwa v5, v80, v8 dst_sel:DWORD dst_unused:UNUSED_PAD src0_sel:WORD_1 src1_sel:DWORD
	v_fma_f16 v4, v80, v8, v4
	v_fma_f16 v3, v80, v3, -v5
	v_pack_b32_f16 v4, v4, v3
	s_waitcnt vmcnt(11)
	v_lshrrev_b32_e32 v3, 16, v9
	s_waitcnt vmcnt(10)
	v_mul_f16_sdwa v5, v79, v3 dst_sel:DWORD dst_unused:UNUSED_PAD src0_sel:WORD_1 src1_sel:DWORD
	v_mul_f16_sdwa v6, v79, v9 dst_sel:DWORD dst_unused:UNUSED_PAD src0_sel:WORD_1 src1_sel:DWORD
	v_fma_f16 v5, v79, v9, v5
	v_fma_f16 v3, v79, v3, -v6
	v_pack_b32_f16 v5, v5, v3
	v_add_u32_e32 v3, 0x600, v73
	ds_write2_b32 v3, v4, v5 offset0:36 offset1:141
	;; [unrolled: 18-line block ×4, first 2 shown]
	s_waitcnt vmcnt(1)
	v_lshrrev_b32_e32 v6, 16, v14
	s_waitcnt vmcnt(0)
	v_mul_f16_sdwa v7, v74, v6 dst_sel:DWORD dst_unused:UNUSED_PAD src0_sel:WORD_1 src1_sel:DWORD
	v_mul_f16_sdwa v8, v74, v14 dst_sel:DWORD dst_unused:UNUSED_PAD src0_sel:WORD_1 src1_sel:DWORD
	v_fma_f16 v7, v74, v14, v7
	v_fma_f16 v6, v74, v6, -v8
	v_pack_b32_f16 v6, v7, v6
	ds_write_b32 v73, v6 offset:4200
	s_and_saveexec_b64 s[20:21], s[0:1]
	s_cbranch_execz .LBB0_3
; %bb.2:
	v_mov_b32_e32 v6, 0xfffff074
	v_mad_u64_u32 v[0:1], s[2:3], s12, v6, v[0:1]
	s_mul_i32 s2, s13, 0xfffff074
	s_sub_i32 s2, s2, s12
	v_add_u32_e32 v1, s2, v1
	global_load_dword v8, v[0:1], off
	global_load_dword v9, v[28:29], off offset:220
	v_mov_b32_e32 v10, s19
	v_add_co_u32_e32 v0, vcc, s18, v0
	v_addc_co_u32_e32 v1, vcc, v1, v10, vcc
	global_load_dword v11, v[0:1], off
	global_load_dword v12, v[28:29], off offset:640
	v_add_co_u32_e32 v0, vcc, s18, v0
	v_addc_co_u32_e32 v1, vcc, v1, v10, vcc
	global_load_dword v13, v[0:1], off
	global_load_dword v14, v[28:29], off offset:1060
	;; [unrolled: 4-line block ×3, first 2 shown]
	global_load_dword v17, v[28:29], off offset:1900
	v_add_co_u32_e32 v0, vcc, s18, v0
	v_addc_co_u32_e32 v1, vcc, v1, v10, vcc
	global_load_dword v18, v[0:1], off
	v_add_co_u32_e32 v0, vcc, s18, v0
	v_addc_co_u32_e32 v1, vcc, v1, v10, vcc
	global_load_dword v19, v[0:1], off
	global_load_dword v20, v[28:29], off offset:2320
	global_load_dword v21, v[28:29], off offset:2740
	;; [unrolled: 1-line block ×3, first 2 shown]
	v_add_co_u32_e32 v0, vcc, s18, v0
	v_addc_co_u32_e32 v1, vcc, v1, v10, vcc
	global_load_dword v23, v[0:1], off
	v_add_co_u32_e32 v0, vcc, s18, v0
	v_addc_co_u32_e32 v1, vcc, v1, v10, vcc
	global_load_dword v24, v[0:1], off
	global_load_dword v25, v[28:29], off offset:3580
	global_load_dword v26, v[28:29], off offset:4000
	v_add_co_u32_e64 v0, s[2:3], s18, v0
	v_addc_co_u32_e64 v1, s[2:3], v1, v10, s[2:3]
	global_load_dword v27, v[0:1], off
	v_add_co_u32_e64 v0, s[2:3], s18, v0
	v_addc_co_u32_e64 v1, s[2:3], v1, v10, s[2:3]
	global_load_dword v31, v[0:1], off
	v_add_co_u32_e32 v6, vcc, 0x1000, v28
	v_addc_co_u32_e32 v7, vcc, 0, v29, vcc
	v_add_co_u32_e32 v0, vcc, s18, v0
	v_addc_co_u32_e32 v1, vcc, v1, v10, vcc
	global_load_dword v10, v[0:1], off
	global_load_dword v32, v[6:7], off offset:324
	s_waitcnt vmcnt(21)
	v_lshrrev_b32_e32 v0, 16, v8
	s_waitcnt vmcnt(20)
	v_mul_f16_sdwa v1, v9, v8 dst_sel:DWORD dst_unused:UNUSED_PAD src0_sel:WORD_1 src1_sel:DWORD
	v_mul_f16_sdwa v6, v9, v0 dst_sel:DWORD dst_unused:UNUSED_PAD src0_sel:WORD_1 src1_sel:DWORD
	v_fma_f16 v0, v9, v0, -v1
	v_fma_f16 v6, v9, v8, v6
	v_pack_b32_f16 v0, v6, v0
	s_waitcnt vmcnt(19)
	v_lshrrev_b32_e32 v1, 16, v11
	s_waitcnt vmcnt(18)
	v_mul_f16_sdwa v7, v12, v11 dst_sel:DWORD dst_unused:UNUSED_PAD src0_sel:WORD_1 src1_sel:DWORD
	v_mul_f16_sdwa v8, v12, v1 dst_sel:DWORD dst_unused:UNUSED_PAD src0_sel:WORD_1 src1_sel:DWORD
	v_fma_f16 v1, v12, v1, -v7
	v_fma_f16 v6, v12, v11, v8
	s_waitcnt vmcnt(17)
	v_lshrrev_b32_e32 v7, 16, v13
	s_waitcnt vmcnt(16)
	v_mul_f16_sdwa v9, v14, v13 dst_sel:DWORD dst_unused:UNUSED_PAD src0_sel:WORD_1 src1_sel:DWORD
	v_mul_f16_sdwa v8, v14, v7 dst_sel:DWORD dst_unused:UNUSED_PAD src0_sel:WORD_1 src1_sel:DWORD
	v_pack_b32_f16 v1, v6, v1
	v_fma_f16 v7, v14, v7, -v9
	v_fma_f16 v6, v14, v13, v8
	ds_write2_b32 v73, v0, v1 offset0:55 offset1:160
	s_waitcnt vmcnt(15)
	v_lshrrev_b32_e32 v1, 16, v15
	v_pack_b32_f16 v0, v6, v7
	s_waitcnt vmcnt(14)
	v_mul_f16_sdwa v6, v16, v1 dst_sel:DWORD dst_unused:UNUSED_PAD src0_sel:WORD_1 src1_sel:DWORD
	v_mul_f16_sdwa v7, v16, v15 dst_sel:DWORD dst_unused:UNUSED_PAD src0_sel:WORD_1 src1_sel:DWORD
	v_fma_f16 v6, v16, v15, v6
	v_fma_f16 v1, v16, v1, -v7
	v_pack_b32_f16 v1, v6, v1
	v_add_u32_e32 v6, 0x400, v73
	ds_write2_b32 v6, v0, v1 offset0:9 offset1:114
	s_waitcnt vmcnt(12)
	v_lshrrev_b32_e32 v0, 16, v18
	v_mul_f16_sdwa v1, v17, v0 dst_sel:DWORD dst_unused:UNUSED_PAD src0_sel:WORD_1 src1_sel:DWORD
	v_mul_f16_sdwa v6, v17, v18 dst_sel:DWORD dst_unused:UNUSED_PAD src0_sel:WORD_1 src1_sel:DWORD
	v_fma_f16 v1, v17, v18, v1
	v_fma_f16 v0, v17, v0, -v6
	v_pack_b32_f16 v0, v1, v0
	s_waitcnt vmcnt(11)
	v_lshrrev_b32_e32 v1, 16, v19
	s_waitcnt vmcnt(10)
	v_mul_f16_sdwa v6, v20, v1 dst_sel:DWORD dst_unused:UNUSED_PAD src0_sel:WORD_1 src1_sel:DWORD
	v_mul_f16_sdwa v7, v20, v19 dst_sel:DWORD dst_unused:UNUSED_PAD src0_sel:WORD_1 src1_sel:DWORD
	v_fma_f16 v6, v20, v19, v6
	v_fma_f16 v1, v20, v1, -v7
	v_pack_b32_f16 v1, v6, v1
	ds_write2_b32 v3, v0, v1 offset0:91 offset1:196
	s_waitcnt vmcnt(7)
	v_lshrrev_b32_e32 v0, 16, v23
	v_mul_f16_sdwa v1, v21, v0 dst_sel:DWORD dst_unused:UNUSED_PAD src0_sel:WORD_1 src1_sel:DWORD
	v_mul_f16_sdwa v6, v21, v23 dst_sel:DWORD dst_unused:UNUSED_PAD src0_sel:WORD_1 src1_sel:DWORD
	v_fma_f16 v1, v21, v23, v1
	v_fma_f16 v0, v21, v0, -v6
	v_pack_b32_f16 v0, v1, v0
	s_waitcnt vmcnt(6)
	v_lshrrev_b32_e32 v1, 16, v24
	v_mul_f16_sdwa v6, v22, v1 dst_sel:DWORD dst_unused:UNUSED_PAD src0_sel:WORD_1 src1_sel:DWORD
	v_mul_f16_sdwa v7, v22, v24 dst_sel:DWORD dst_unused:UNUSED_PAD src0_sel:WORD_1 src1_sel:DWORD
	v_fma_f16 v6, v22, v24, v6
	v_fma_f16 v1, v22, v1, -v7
	v_pack_b32_f16 v1, v6, v1
	v_add_u32_e32 v6, 0xa00, v73
	ds_write2_b32 v6, v0, v1 offset0:45 offset1:150
	s_waitcnt vmcnt(3)
	v_lshrrev_b32_e32 v0, 16, v27
	v_mul_f16_sdwa v1, v25, v0 dst_sel:DWORD dst_unused:UNUSED_PAD src0_sel:WORD_1 src1_sel:DWORD
	v_mul_f16_sdwa v6, v25, v27 dst_sel:DWORD dst_unused:UNUSED_PAD src0_sel:WORD_1 src1_sel:DWORD
	v_fma_f16 v1, v25, v27, v1
	v_fma_f16 v0, v25, v0, -v6
	v_pack_b32_f16 v0, v1, v0
	s_waitcnt vmcnt(2)
	v_lshrrev_b32_e32 v1, 16, v31
	v_mul_f16_sdwa v6, v26, v1 dst_sel:DWORD dst_unused:UNUSED_PAD src0_sel:WORD_1 src1_sel:DWORD
	v_mul_f16_sdwa v7, v26, v31 dst_sel:DWORD dst_unused:UNUSED_PAD src0_sel:WORD_1 src1_sel:DWORD
	v_fma_f16 v6, v26, v31, v6
	v_fma_f16 v1, v26, v1, -v7
	v_pack_b32_f16 v1, v6, v1
	ds_write2_b32 v5, v0, v1 offset0:127 offset1:232
	s_waitcnt vmcnt(1)
	v_lshrrev_b32_e32 v0, 16, v10
	s_waitcnt vmcnt(0)
	v_mul_f16_sdwa v1, v32, v0 dst_sel:DWORD dst_unused:UNUSED_PAD src0_sel:WORD_1 src1_sel:DWORD
	v_mul_f16_sdwa v6, v32, v10 dst_sel:DWORD dst_unused:UNUSED_PAD src0_sel:WORD_1 src1_sel:DWORD
	v_fma_f16 v1, v32, v10, v1
	v_fma_f16 v0, v32, v0, -v6
	v_pack_b32_f16 v0, v1, v0
	ds_write_b32 v73, v0 offset:4420
.LBB0_3:
	s_or_b64 exec, exec, s[20:21]
	s_waitcnt lgkmcnt(0)
	; wave barrier
	s_waitcnt lgkmcnt(0)
	ds_read2_b32 v[10:11], v73 offset1:105
	ds_read2_b32 v[16:17], v2 offset0:82 offset1:187
	ds_read2_b32 v[12:13], v3 offset0:36 offset1:141
	;; [unrolled: 1-line block ×4, first 2 shown]
	ds_read_b32 v20, v73 offset:4200
	v_mov_b32_e32 v0, 0
                                        ; implicit-def: $vgpr22
                                        ; implicit-def: $vgpr9
                                        ; implicit-def: $vgpr7
                                        ; implicit-def: $vgpr5
                                        ; implicit-def: $vgpr3
	s_and_saveexec_b64 s[2:3], s[0:1]
	s_cbranch_execz .LBB0_5
; %bb.4:
	v_add_u32_e32 v2, 0x400, v73
	v_add_u32_e32 v4, 0x600, v73
	;; [unrolled: 1-line block ×4, first 2 shown]
	ds_read2_b32 v[0:1], v73 offset0:55 offset1:160
	ds_read2_b32 v[2:3], v2 offset0:9 offset1:114
	;; [unrolled: 1-line block ×5, first 2 shown]
	ds_read_b32 v22, v73 offset:4420
.LBB0_5:
	s_or_b64 exec, exec, s[2:3]
	s_waitcnt lgkmcnt(5)
	v_pk_add_f16 v21, v10, v11
	s_waitcnt lgkmcnt(4)
	v_pk_add_f16 v21, v21, v16
	v_pk_add_f16 v21, v21, v17
	s_waitcnt lgkmcnt(3)
	v_pk_add_f16 v21, v21, v12
	v_mul_lo_u16_e32 v23, 11, v84
	v_pk_add_f16 v21, v21, v13
	s_mov_b32 s23, 0xb853
	v_lshlrev_b32_e32 v86, 2, v23
	s_waitcnt lgkmcnt(2)
	v_pk_add_f16 v21, v21, v14
	s_waitcnt lgkmcnt(0)
	v_pk_add_f16 v23, v20, v11
	v_pk_add_f16 v11, v11, v20 neg_lo:[0,1] neg_hi:[0,1]
	s_movk_i32 s12, 0x3abb
	s_mov_b32 s25, 0xbb47
	v_pk_add_f16 v21, v21, v15
	v_mul_f16_sdwa v24, v11, s23 dst_sel:DWORD dst_unused:UNUSED_PAD src0_sel:WORD_1 src1_sel:DWORD
	v_pk_add_f16 v46, v19, v16
	v_pk_add_f16 v16, v16, v19 neg_lo:[0,1] neg_hi:[0,1]
	s_mov_b32 s31, 0x3abb36a6
	s_movk_i32 s13, 0x36a6
	s_mov_b32 s18, 0xbbeb
	v_pk_add_f16 v21, v21, v18
	v_fma_f16 v25, v23, s12, -v24
	v_mul_f16_sdwa v47, v16, s25 dst_sel:DWORD dst_unused:UNUSED_PAD src0_sel:WORD_1 src1_sel:DWORD
	v_pk_add_f16 v53, v18, v17
	v_pk_add_f16 v17, v17, v18 neg_lo:[0,1] neg_hi:[0,1]
	s_mov_b32 s2, 0xbb47b853
	s_mov_b32 s33, 0x36a6b93d
	;; [unrolled: 1-line block ×4, first 2 shown]
	v_pk_add_f16 v21, v21, v19
	v_add_f16_e32 v25, v10, v25
	v_pk_mul_f16 v26, v23, s31
	v_fma_f16 v19, v46, s13, -v47
	v_mul_f16_sdwa v55, v17, s18 dst_sel:DWORD dst_unused:UNUSED_PAD src0_sel:WORD_1 src1_sel:DWORD
	v_pk_add_f16 v60, v15, v12
	v_pk_add_f16 v12, v12, v15 neg_lo:[0,1] neg_hi:[0,1]
	s_mov_b32 s3, 0xba0cbb47
	s_mov_b32 s19, 0xb93d
	;; [unrolled: 1-line block ×3, first 2 shown]
	v_pk_fma_f16 v27, v11, s2, v26 op_sel:[0,0,1] op_sel_hi:[1,1,0] neg_lo:[1,0,0] neg_hi:[1,0,0]
	v_pk_fma_f16 v26, v11, s2, v26 op_sel:[0,0,1] op_sel_hi:[1,1,0]
	s_mov_b32 s26, 0xffff
	v_add_f16_e32 v19, v19, v25
	v_pk_mul_f16 v25, v46, s33
	v_fma_f16 v18, v53, s20, -v55
	v_mul_f16_sdwa v61, v12, s16 dst_sel:DWORD dst_unused:UNUSED_PAD src0_sel:WORD_1 src1_sel:DWORD
	s_mov_b32 s28, 0x3482bbeb
	s_mov_b32 s35, 0xb93db08e
	v_bfi_b32 v31, s26, v26, v27
	v_lshrrev_b32_e32 v32, 16, v23
	v_mul_f16_e32 v33, 0xbb47, v11
	v_pk_fma_f16 v48, v16, s3, v25 op_sel:[0,0,1] op_sel_hi:[1,1,0] neg_lo:[1,0,0] neg_hi:[1,0,0]
	v_pk_fma_f16 v49, v16, s3, v25 op_sel:[0,0,1] op_sel_hi:[1,1,0]
	v_add_f16_e32 v18, v18, v19
	v_pk_mul_f16 v19, v53, s34
	v_fma_f16 v15, v60, s19, -v61
	s_mov_b32 s29, 0x3bebba0c
	v_pk_add_f16 v31, v10, v31 op_sel:[1,0] op_sel_hi:[0,1]
	v_fma_f16 v34, v32, s13, v33
	v_bfi_b32 v25, s26, v49, v48
	v_lshrrev_b32_e32 v50, 16, v46
	v_mul_f16_e32 v51, 0xba0c, v16
	v_pk_fma_f16 v56, v17, s28, v19 op_sel:[0,0,1] op_sel_hi:[1,1,0] neg_lo:[1,0,0] neg_hi:[1,0,0]
	v_pk_fma_f16 v57, v17, s28, v19 op_sel:[0,0,1] op_sel_hi:[1,1,0]
	v_add_f16_e32 v15, v15, v18
	v_pk_mul_f16 v18, v60, s35
	s_mov_b32 s22, 0xbbad
	s_mov_b32 s21, 0xb482
	;; [unrolled: 1-line block ×3, first 2 shown]
	v_add_f16_sdwa v34, v10, v34 dst_sel:DWORD dst_unused:UNUSED_PAD src0_sel:WORD_1 src1_sel:DWORD
	v_pk_add_f16 v25, v25, v31
	v_fma_f16 v31, v50, s19, v51
	v_bfi_b32 v19, s26, v57, v56
	v_lshrrev_b32_e32 v58, 16, v53
	v_mul_f16_e32 v59, 0x3482, v17
	v_pk_fma_f16 v62, v12, s29, v18 op_sel:[0,0,1] op_sel_hi:[1,1,0] neg_lo:[1,0,0] neg_hi:[1,0,0]
	v_pk_fma_f16 v63, v12, s29, v18 op_sel:[0,0,1] op_sel_hi:[1,1,0]
	v_pk_add_f16 v66, v14, v13
	v_pk_add_f16 v67, v13, v14 neg_lo:[0,1] neg_hi:[0,1]
	s_mov_b32 s30, 0x3853b482
	v_add_f16_e32 v31, v31, v34
	v_pk_add_f16 v19, v19, v25
	v_fma_f16 v25, v58, s22, v59
	v_bfi_b32 v18, s26, v63, v62
	v_lshrrev_b32_e32 v64, 16, v60
	v_mul_f16_e32 v65, 0x3beb, v12
	v_mul_f16_sdwa v68, v67, s21 dst_sel:DWORD dst_unused:UNUSED_PAD src0_sel:WORD_1 src1_sel:DWORD
	v_pk_mul_f16 v69, v66, s37
	v_add_f16_e32 v25, v25, v31
	v_pk_add_f16 v18, v18, v19
	v_fma_f16 v19, v64, s20, v65
	v_fma_f16 v13, v66, s22, -v68
	v_pk_fma_f16 v70, v67, s30, v69 op_sel:[0,0,1] op_sel_hi:[1,1,0] neg_lo:[1,0,0] neg_hi:[1,0,0]
	v_pk_fma_f16 v14, v67, s30, v69 op_sel:[0,0,1] op_sel_hi:[1,1,0]
	v_lshrrev_b32_e32 v71, 16, v66
	v_mul_f16_e32 v72, 0x3853, v67
	v_add_f16_e32 v19, v19, v25
	v_add_f16_e32 v13, v13, v15
	v_bfi_b32 v14, s26, v14, v70
	v_fma_f16 v15, v71, s12, v72
	v_mul_f16_e32 v37, 0xbbeb, v11
	v_pk_add_f16 v14, v14, v18
	v_add_f16_e32 v15, v15, v19
	v_fma_f16 v18, v32, s20, v37
	v_alignbit_b32 v15, v15, v14, 16
	v_pack_b32_f16 v13, v13, v14
	v_mul_f16_e32 v87, 0x3482, v16
	s_movk_i32 s27, 0x3beb
	s_waitcnt lgkmcnt(0)
	; wave barrier
	v_add_f16_sdwa v18, v10, v18 dst_sel:DWORD dst_unused:UNUSED_PAD src0_sel:WORD_1 src1_sel:DWORD
	v_mul_f16_sdwa v14, v11, s16 dst_sel:DWORD dst_unused:UNUSED_PAD src0_sel:WORD_1 src1_sel:DWORD
	ds_write2_b32 v86, v13, v15 offset0:1 offset1:2
	v_fma_f16 v13, v50, s22, v87
	v_add_f16_e32 v13, v13, v18
	v_fma_f16 v15, v23, s19, -v14
	v_mul_f16_sdwa v18, v16, s27 dst_sel:DWORD dst_unused:UNUSED_PAD src0_sel:WORD_1 src1_sel:DWORD
	s_movk_i32 s24, 0x3482
	v_mul_f16_sdwa v35, v11, s18 dst_sel:DWORD dst_unused:UNUSED_PAD src0_sel:WORD_1 src1_sel:DWORD
	v_add_f16_e32 v15, v10, v15
	v_fma_f16 v19, v46, s20, -v18
	v_fma_f16 v36, v23, s20, -v35
	v_mul_f16_sdwa v52, v16, s24 dst_sel:DWORD dst_unused:UNUSED_PAD src0_sel:WORD_1 src1_sel:DWORD
	v_add_f16_e32 v15, v19, v15
	v_mul_f16_e32 v19, 0xba0c, v11
	v_add_f16_e32 v36, v10, v36
	v_fma_f16 v34, v46, s22, -v52
	v_fma_f16 v25, v32, s19, v19
	v_mul_f16_e32 v31, 0x3beb, v16
	s_movk_i32 s36, 0x3b47
	v_add_f16_e32 v34, v34, v36
	v_add_f16_sdwa v25, v10, v25 dst_sel:DWORD dst_unused:UNUSED_PAD src0_sel:WORD_1 src1_sel:DWORD
	v_fma_f16 v36, v50, s20, v31
	v_mul_f16_sdwa v88, v17, s36 dst_sel:DWORD dst_unused:UNUSED_PAD src0_sel:WORD_1 src1_sel:DWORD
	v_add_f16_e32 v25, v36, v25
	v_fma_f16 v36, v53, s13, -v88
	v_mul_f16_e32 v89, 0x3b47, v17
	v_add_f16_e32 v34, v36, v34
	v_fma_f16 v36, v58, s13, v89
	v_add_f16_e32 v13, v36, v13
	v_mul_f16_sdwa v36, v17, s23 dst_sel:DWORD dst_unused:UNUSED_PAD src0_sel:WORD_1 src1_sel:DWORD
	v_fma_f16 v38, v53, s12, -v36
	v_add_f16_e32 v15, v38, v15
	v_mul_f16_e32 v38, 0xb853, v17
	v_fma_f16 v39, v58, s12, v38
	v_mul_f16_sdwa v90, v12, s23 dst_sel:DWORD dst_unused:UNUSED_PAD src0_sel:WORD_1 src1_sel:DWORD
	v_add_f16_e32 v25, v39, v25
	v_fma_f16 v39, v60, s12, -v90
	v_mul_f16_e32 v91, 0xb853, v12
	v_add_f16_e32 v34, v39, v34
	v_fma_f16 v39, v64, s12, v91
	v_add_f16_e32 v13, v39, v13
	v_mul_f16_sdwa v39, v12, s21 dst_sel:DWORD dst_unused:UNUSED_PAD src0_sel:WORD_1 src1_sel:DWORD
	v_fma_f16 v40, v60, s22, -v39
	v_add_f16_e32 v15, v40, v15
	v_mul_f16_e32 v40, 0xb482, v12
	;; [unrolled: 12-line block ×3, first 2 shown]
	v_fma_f16 v43, v71, s13, v42
	v_add_f16_e32 v25, v43, v25
	v_pack_b32_f16 v15, v15, v25
	v_pack_b32_f16 v13, v34, v13
	ds_write2_b32 v86, v13, v15 offset0:3 offset1:4
	v_fma_f16 v13, v32, s13, -v33
	v_fma_f16 v19, v32, s19, -v19
	v_fma_f16 v24, v23, s12, v24
	v_fma_f16 v25, v23, s20, v35
	;; [unrolled: 1-line block ×3, first 2 shown]
	v_pk_mul_f16 v23, v23, s22 op_sel_hi:[1,0]
	v_fma_f16 v15, v32, s20, -v37
	v_pk_fma_f16 v32, v11, s21, v23 op_sel:[0,0,1] op_sel_hi:[1,0,0] neg_lo:[1,0,0] neg_hi:[1,0,0]
	v_pk_fma_f16 v11, v11, s21, v23 op_sel:[0,0,1] op_sel_hi:[1,0,0]
	v_alignbit_b32 v23, s0, v26, 16
	v_add_f16_sdwa v96, v10, v13 dst_sel:DWORD dst_unused:UNUSED_PAD src0_sel:WORD_1 src1_sel:DWORD
	v_add_f16_e32 v13, v10, v14
	v_add_f16_sdwa v14, v10, v19 dst_sel:DWORD dst_unused:UNUSED_PAD src0_sel:WORD_1 src1_sel:DWORD
	s_movk_i32 s38, 0x3853
	v_pk_mul_f16 v19, v46, s12 op_sel_hi:[1,0]
	v_pk_add_f16 v95, v10, v23
	v_pk_add_f16 v11, v10, v11 op_sel:[1,0] op_sel_hi:[0,1]
	v_pk_fma_f16 v23, v16, s38, v19 op_sel:[0,0,1] op_sel_hi:[1,0,0] neg_lo:[1,0,0] neg_hi:[1,0,0]
	v_pk_fma_f16 v16, v16, s38, v19 op_sel:[0,0,1] op_sel_hi:[1,0,0]
	v_pk_add_f16 v11, v16, v11
	v_pk_mul_f16 v16, v53, s19 op_sel_hi:[1,0]
	v_add_f16_sdwa v98, v10, v15 dst_sel:DWORD dst_unused:UNUSED_PAD src0_sel:WORD_1 src1_sel:DWORD
	v_alignbit_b32 v15, s0, v32, 16
	v_pk_fma_f16 v19, v17, s16, v16 op_sel:[0,0,1] op_sel_hi:[1,0,0] neg_lo:[1,0,0] neg_hi:[1,0,0]
	v_pk_fma_f16 v16, v17, s16, v16 op_sel:[0,0,1] op_sel_hi:[1,0,0]
	v_add_f16_e32 v94, v10, v24
	v_add_f16_e32 v97, v10, v25
	v_add_f16_sdwa v99, v10, v27 dst_sel:DWORD dst_unused:UNUSED_PAD src0_sel:WORD_1 src1_sel:DWORD
	v_pk_add_f16 v15, v10, v15
	v_alignbit_b32 v10, s0, v10, 16
	v_pk_add_f16 v11, v16, v11
	v_pk_mul_f16 v16, v60, s13 op_sel_hi:[1,0]
	v_pk_add_f16 v10, v10, v32
	v_alignbit_b32 v24, s0, v23, 16
	v_pk_fma_f16 v17, v12, s36, v16 op_sel:[0,0,1] op_sel_hi:[1,0,0] neg_lo:[1,0,0] neg_hi:[1,0,0]
	v_pk_fma_f16 v12, v12, s36, v16 op_sel:[0,0,1] op_sel_hi:[1,0,0]
	v_pk_add_f16 v15, v24, v15
	v_pk_add_f16 v10, v23, v10
	v_alignbit_b32 v23, s0, v19, 16
	v_pk_add_f16 v11, v12, v11
	v_pk_mul_f16 v12, v66, s20 op_sel_hi:[1,0]
	v_pk_add_f16 v15, v23, v15
	v_pk_add_f16 v10, v19, v10
	v_alignbit_b32 v19, s0, v17, 16
	v_pk_fma_f16 v16, v67, s18, v12 op_sel:[0,0,1] op_sel_hi:[1,0,0] neg_lo:[1,0,0] neg_hi:[1,0,0]
	v_pk_add_f16 v15, v19, v15
	v_pk_add_f16 v10, v17, v10
	v_alignbit_b32 v17, s0, v16, 16
	v_pk_fma_f16 v12, v67, s18, v12 op_sel:[0,0,1] op_sel_hi:[1,0,0]
	v_pk_add_f16 v15, v17, v15
	v_pk_add_f16 v11, v12, v11
	;; [unrolled: 1-line block ×3, first 2 shown]
	v_alignbit_b32 v10, v10, v11, 16
	v_pack_b32_f16 v11, v15, v11
	ds_write2_b32 v86, v11, v10 offset0:5 offset1:6
	v_fma_f16 v10, v46, s20, v18
	v_add_f16_e32 v10, v10, v13
	v_fma_f16 v11, v50, s20, -v31
	v_fma_f16 v12, v53, s12, v36
	v_add_f16_e32 v11, v11, v14
	v_add_f16_e32 v10, v12, v10
	v_fma_f16 v12, v58, s12, -v38
	v_add_f16_e32 v11, v12, v11
	v_fma_f16 v13, v60, s22, v39
	v_fma_f16 v14, v64, s22, -v40
	v_add_f16_e32 v13, v13, v10
	v_add_f16_e32 v11, v14, v11
	v_fma_f16 v14, v66, s13, v41
	v_fma_f16 v15, v71, s13, -v42
	v_pk_add_f16 v10, v1, v22 neg_lo:[0,1] neg_hi:[0,1]
	v_add_f16_e32 v13, v14, v13
	v_add_f16_e32 v11, v15, v11
	v_fma_f16 v47, v46, s13, v47
	v_pk_add_f16 v12, v22, v1
	v_mul_f16_sdwa v23, v10, s23 dst_sel:DWORD dst_unused:UNUSED_PAD src0_sel:WORD_1 src1_sel:DWORD
	v_pack_b32_f16 v13, v13, v11
	v_pk_add_f16 v11, v2, v9 neg_lo:[0,1] neg_hi:[0,1]
	v_add_f16_e32 v47, v47, v94
	v_alignbit_b32 v49, s0, v49, 16
	v_fma_f16 v46, v46, s22, v52
	v_fma_f16 v52, v53, s20, v55
	v_pk_add_f16 v16, v21, v20
	v_fma_f16 v14, v12, s12, v23
	v_pk_add_f16 v15, v9, v2
	v_mul_f16_sdwa v26, v11, s25 dst_sel:DWORD dst_unused:UNUSED_PAD src0_sel:WORD_1 src1_sel:DWORD
	v_pk_add_f16 v49, v49, v95
	v_fma_f16 v51, v50, s19, -v51
	v_add_f16_e32 v47, v52, v47
	v_alignbit_b32 v52, s0, v57, 16
	v_add_f16_e32 v14, v14, v0
	ds_write2_b32 v86, v16, v13 offset1:7
	v_fma_f16 v13, v15, s13, v26
	v_lshrrev_b32_e32 v24, 16, v12
	v_mul_f16_e32 v34, 0xbb47, v10
	v_add_f16_e32 v51, v51, v96
	v_pk_add_f16 v52, v52, v49
	v_fma_f16 v49, v58, s22, -v59
	v_add_f16_e32 v14, v13, v14
	v_fma_f16 v13, v24, s13, -v34
	v_lshrrev_b32_e32 v25, 16, v15
	v_mul_f16_e32 v35, 0xba0c, v11
	v_add_f16_e32 v46, v46, v97
	v_fma_f16 v50, v50, s22, -v87
	v_add_f16_e32 v49, v49, v51
	v_fma_f16 v51, v53, s13, v88
	v_add_f16_sdwa v13, v13, v0 dst_sel:DWORD dst_unused:UNUSED_PAD src0_sel:DWORD src1_sel:WORD_1
	v_fma_f16 v16, v25, s19, -v35
	v_add_f16_e32 v50, v50, v98
	v_add_f16_e32 v46, v51, v46
	v_fma_f16 v51, v58, s13, -v89
	v_add_f16_e32 v16, v16, v13
	v_pk_add_f16 v13, v3, v8 neg_lo:[0,1] neg_hi:[0,1]
	v_add_f16_e32 v50, v51, v50
	v_fma_f16 v51, v60, s19, v61
	v_pk_add_f16 v17, v8, v3
	v_mul_f16_sdwa v32, v13, s18 dst_sel:DWORD dst_unused:UNUSED_PAD src0_sel:WORD_1 src1_sel:DWORD
	v_add_f16_e32 v47, v51, v47
	v_fma_f16 v53, v66, s22, v68
	v_fma_f16 v18, v17, s20, v32
	v_lshrrev_b32_e32 v27, 16, v17
	v_mul_f16_e32 v37, 0x3482, v13
	v_add_f16_e32 v57, v53, v47
	v_add_f16_e32 v47, v48, v99
	;; [unrolled: 1-line block ×3, first 2 shown]
	v_fma_f16 v14, v27, s22, -v37
	v_add_f16_e32 v47, v56, v47
	v_add_f16_e32 v16, v14, v16
	v_pk_add_f16 v14, v4, v7 neg_lo:[0,1] neg_hi:[0,1]
	v_fma_f16 v51, v64, s20, -v65
	v_add_f16_e32 v47, v62, v47
	v_pk_add_f16 v18, v7, v4
	v_mul_f16_sdwa v33, v14, s16 dst_sel:DWORD dst_unused:UNUSED_PAD src0_sel:WORD_1 src1_sel:DWORD
	v_add_f16_e32 v49, v51, v49
	v_fma_f16 v51, v60, s12, v90
	v_add_f16_e32 v56, v70, v47
	v_fma_f16 v47, v71, s12, -v72
	v_fma_f16 v20, v18, s19, v33
	v_lshrrev_b32_e32 v31, 16, v18
	v_mul_f16_e32 v39, 0x3beb, v14
	v_add_f16_e32 v46, v51, v46
	v_add_f16_e32 v58, v47, v49
	v_fma_f16 v47, v66, s19, v92
	v_add_f16_e32 v20, v20, v19
	v_fma_f16 v19, v31, s20, -v39
	v_fma_f16 v51, v64, s12, -v91
	v_add_f16_e32 v59, v47, v46
	v_pk_mul_f16 v47, v67, s30
	v_add_f16_e32 v54, v19, v16
	v_pk_add_f16 v16, v5, v6 neg_lo:[0,1] neg_hi:[0,1]
	v_pack_b32_f16 v46, v51, v69
	v_bfi_b32 v47, s26, v50, v47
	v_pk_add_f16 v19, v6, v5
	v_mul_f16_sdwa v36, v16, s21 dst_sel:DWORD dst_unused:UNUSED_PAD src0_sel:WORD_1 src1_sel:DWORD
	v_pk_mul_f16 v100, v12, s31
	v_pk_add_f16 v51, v46, v47
	v_mul_f16_e32 v46, 0xba0c, v67
	v_fma_f16 v21, v19, s22, v36
	v_pk_fma_f16 v40, v10, s2, v100 op_sel:[0,0,1] op_sel_hi:[1,1,0]
	v_pk_mul_f16 v101, v15, s33
	v_pk_add_f16 v60, v93, v46 neg_lo:[0,1] neg_hi:[0,1]
	v_pk_fma_f16 v46, v10, s2, v100 op_sel:[0,0,1] op_sel_hi:[1,1,0] neg_lo:[1,0,0] neg_hi:[1,0,0]
	v_lshlrev_b32_e32 v52, 16, v52
	v_add_f16_e32 v21, v21, v20
	v_pk_fma_f16 v41, v11, s3, v101 op_sel:[0,0,1] op_sel_hi:[1,1,0]
	v_add_f16_sdwa v20, v40, v0 dst_sel:DWORD dst_unused:UNUSED_PAD src0_sel:WORD_1 src1_sel:DWORD
	v_pk_mul_f16 v102, v17, s34
	s_load_dwordx2 s[4:5], s[4:5], 0x8
	v_pk_fma_f16 v47, v11, s3, v101 op_sel:[0,0,1] op_sel_hi:[1,1,0] neg_lo:[1,0,0] neg_hi:[1,0,0]
	v_pk_add_f16 v52, v63, v52
	v_add_f16_sdwa v55, v46, v0 dst_sel:DWORD dst_unused:UNUSED_PAD src0_sel:DWORD src1_sel:WORD_1
	v_add_f16_sdwa v20, v41, v20 dst_sel:DWORD dst_unused:UNUSED_PAD src0_sel:WORD_1 src1_sel:DWORD
	v_pk_fma_f16 v42, v13, s28, v102 op_sel:[0,0,1] op_sel_hi:[1,1,0]
	v_pk_mul_f16 v103, v18, s35
	v_pk_fma_f16 v48, v13, s28, v102 op_sel:[0,0,1] op_sel_hi:[1,1,0] neg_lo:[1,0,0] neg_hi:[1,0,0]
	v_add_f16_e32 v55, v47, v55
	v_bfi_b32 v52, s26, v60, v52
	v_add_f16_sdwa v20, v42, v20 dst_sel:DWORD dst_unused:UNUSED_PAD src0_sel:WORD_1 src1_sel:DWORD
	v_pk_fma_f16 v43, v14, s29, v103 op_sel:[0,0,1] op_sel_hi:[1,1,0]
	v_pk_mul_f16 v104, v19, s37
	v_lshrrev_b32_e32 v38, 16, v19
	v_mul_f16_e32 v45, 0x3853, v16
	v_pk_fma_f16 v49, v14, s29, v103 op_sel:[0,0,1] op_sel_hi:[1,1,0] neg_lo:[1,0,0] neg_hi:[1,0,0]
	v_add_f16_e32 v55, v48, v55
	v_pk_add_f16 v51, v52, v51
	v_add_f16_sdwa v20, v43, v20 dst_sel:DWORD dst_unused:UNUSED_PAD src0_sel:WORD_1 src1_sel:DWORD
	v_pk_fma_f16 v44, v16, s30, v104 op_sel:[0,0,1] op_sel_hi:[1,1,0]
	v_fma_f16 v105, v38, s12, -v45
	v_add_co_u32_e32 v53, vcc, 55, v84
	v_pk_fma_f16 v50, v16, s30, v104 op_sel:[0,0,1] op_sel_hi:[1,1,0] neg_lo:[1,0,0] neg_hi:[1,0,0]
	v_add_f16_e32 v55, v49, v55
	v_alignbit_b32 v52, v58, v51, 16
	v_pack_b32_f16 v51, v59, v51
	v_add_f16_sdwa v20, v44, v20 dst_sel:DWORD dst_unused:UNUSED_PAD src0_sel:WORD_1 src1_sel:DWORD
	v_add_f16_e32 v54, v105, v54
	v_add_f16_e32 v55, v50, v55
	ds_write2_b32 v86, v51, v52 offset0:8 offset1:9
	v_pack_b32_f16 v51, v57, v56
	v_mul_u32_u24_e32 v87, 11, v53
	ds_write_b32 v86, v51 offset:40
	s_and_saveexec_b64 s[2:3], s[0:1]
	s_cbranch_execz .LBB0_7
; %bb.6:
	v_mul_f16_e32 v65, 0xb93d, v24
	s_movk_i32 s28, 0x3a0c
	v_fma_f16 v66, v10, s28, v65
	v_mul_f16_e32 v67, 0xb08e, v25
	v_add_f16_sdwa v66, v66, v0 dst_sel:DWORD dst_unused:UNUSED_PAD src0_sel:DWORD src1_sel:WORD_1
	v_fma_f16 v68, v11, s18, v67
	v_add_f16_e32 v66, v68, v66
	v_mul_f16_e32 v68, 0x3abb, v27
	v_fma_f16 v69, v13, s38, v68
	v_add_f16_e32 v66, v69, v66
	v_mul_f16_e32 v69, 0xbbad, v31
	;; [unrolled: 3-line block ×3, first 2 shown]
	v_fma_f16 v71, v16, s25, v70
	v_fma_f16 v65, v10, s16, v65
	v_add_f16_e32 v66, v71, v66
	v_mul_f16_sdwa v71, v10, s16 dst_sel:DWORD dst_unused:UNUSED_PAD src0_sel:WORD_1 src1_sel:DWORD
	v_add_f16_sdwa v65, v65, v0 dst_sel:DWORD dst_unused:UNUSED_PAD src0_sel:DWORD src1_sel:WORD_1
	v_fma_f16 v67, v11, s27, v67
	v_fma_f16 v72, v12, s19, v71
	v_mul_f16_sdwa v88, v11, s27 dst_sel:DWORD dst_unused:UNUSED_PAD src0_sel:WORD_1 src1_sel:DWORD
	v_add_f16_e32 v65, v67, v65
	v_fma_f16 v67, v13, s23, v68
	v_add_f16_e32 v72, v72, v0
	v_fma_f16 v89, v15, s20, v88
	;; [unrolled: 2-line block ×3, first 2 shown]
	v_add_f16_e32 v72, v89, v72
	v_mul_f16_sdwa v89, v13, s23 dst_sel:DWORD dst_unused:UNUSED_PAD src0_sel:WORD_1 src1_sel:DWORD
	v_add_f16_e32 v65, v67, v65
	v_fma_f16 v67, v16, s36, v70
	v_fma_f16 v90, v17, s12, v89
	v_add_f16_e32 v65, v67, v65
	v_fma_f16 v67, v12, s19, -v71
	v_add_f16_e32 v72, v90, v72
	v_mul_f16_sdwa v90, v14, s21 dst_sel:DWORD dst_unused:UNUSED_PAD src0_sel:WORD_1 src1_sel:DWORD
	v_add_f16_e32 v67, v67, v0
	v_fma_f16 v68, v15, s20, -v88
	v_fma_f16 v91, v18, s22, v90
	v_add_f16_e32 v67, v68, v67
	v_fma_f16 v68, v17, s12, -v89
	v_add_f16_e32 v72, v91, v72
	v_mul_f16_sdwa v91, v16, s36 dst_sel:DWORD dst_unused:UNUSED_PAD src0_sel:WORD_1 src1_sel:DWORD
	v_add_f16_e32 v67, v68, v67
	v_fma_f16 v68, v18, s22, -v90
	v_add_f16_e32 v67, v68, v67
	v_fma_f16 v68, v19, s13, -v91
	v_add_f16_e32 v67, v68, v67
	v_mul_f16_e32 v68, 0xbbeb, v10
	v_fma_f16 v69, v24, s20, v68
	v_mul_f16_e32 v70, 0x3482, v11
	v_add_f16_sdwa v69, v69, v0 dst_sel:DWORD dst_unused:UNUSED_PAD src0_sel:DWORD src1_sel:WORD_1
	v_fma_f16 v71, v25, s22, v70
	v_add_f16_e32 v69, v71, v69
	v_mul_f16_e32 v71, 0x3b47, v13
	v_fma_f16 v88, v27, s13, v71
	v_add_f16_e32 v69, v88, v69
	v_mul_f16_e32 v88, 0xb853, v14
	;; [unrolled: 3-line block ×3, first 2 shown]
	v_mul_f16_e32 v51, 0x3abb, v12
	v_mul_f16_e32 v56, 0x36a6, v24
	v_fma_f16 v90, v38, s19, v89
	v_fma_f16 v24, v24, s20, -v68
	v_mul_f16_e32 v57, 0x36a6, v15
	v_mul_f16_e32 v58, 0xb93d, v25
	v_fma_f16 v92, v19, s13, v91
	v_add_f16_e32 v69, v90, v69
	v_mul_f16_sdwa v90, v10, s18 dst_sel:DWORD dst_unused:UNUSED_PAD src0_sel:WORD_1 src1_sel:DWORD
	v_sub_f16_e32 v23, v51, v23
	v_pk_add_f16 v1, v1, v0
	v_add_f16_sdwa v24, v24, v0 dst_sel:DWORD dst_unused:UNUSED_PAD src0_sel:DWORD src1_sel:WORD_1
	v_fma_f16 v25, v25, s22, -v70
	v_mul_f16_e32 v59, 0xb08e, v17
	v_add_f16_e32 v72, v92, v72
	v_fma_f16 v91, v12, s20, -v90
	v_mul_f16_sdwa v92, v11, s24 dst_sel:DWORD dst_unused:UNUSED_PAD src0_sel:WORD_1 src1_sel:DWORD
	v_add_f16_e32 v23, v23, v0
	v_sub_f16_e32 v26, v57, v26
	v_add_f16_e32 v24, v25, v24
	v_fma_f16 v25, v27, s13, -v71
	v_pk_add_f16 v1, v2, v1
	v_mul_f16_e32 v61, 0xb93d, v18
	v_add_f16_e32 v91, v91, v0
	v_fma_f16 v93, v15, s22, -v92
	v_add_f16_e32 v23, v26, v23
	v_sub_f16_e32 v26, v59, v32
	v_add_f16_e32 v24, v25, v24
	v_fma_f16 v25, v31, s12, -v88
	v_pk_add_f16 v1, v3, v1
	v_mul_f16_e32 v63, 0xbbad, v19
	v_add_f16_e32 v91, v93, v91
	v_mul_f16_sdwa v93, v13, s36 dst_sel:DWORD dst_unused:UNUSED_PAD src0_sel:WORD_1 src1_sel:DWORD
	v_add_f16_e32 v23, v26, v23
	v_sub_f16_e32 v26, v61, v33
	v_add_f16_e32 v24, v25, v24
	v_fma_f16 v25, v38, s19, -v89
	v_pk_add_f16 v1, v4, v1
	v_fma_f16 v94, v17, s13, -v93
	v_add_f16_e32 v34, v34, v56
	v_add_f16_e32 v23, v26, v23
	v_sub_f16_e32 v26, v63, v36
	v_add_f16_e32 v24, v25, v24
	v_fma_f16 v25, v12, s20, v90
	v_pk_add_f16 v1, v5, v1
	v_mul_f16_e32 v60, 0xbbad, v27
	v_add_f16_e32 v91, v94, v91
	v_mul_f16_sdwa v94, v14, s23 dst_sel:DWORD dst_unused:UNUSED_PAD src0_sel:WORD_1 src1_sel:DWORD
	v_add_f16_sdwa v34, v34, v0 dst_sel:DWORD dst_unused:UNUSED_PAD src0_sel:DWORD src1_sel:WORD_1
	v_add_f16_e32 v35, v35, v58
	v_add_f16_e32 v23, v26, v23
	;; [unrolled: 1-line block ×3, first 2 shown]
	v_fma_f16 v26, v15, s22, v92
	v_pk_add_f16 v1, v6, v1
	v_mul_f16_e32 v62, 0xb08e, v31
	v_fma_f16 v95, v18, s12, -v94
	v_add_f16_e32 v34, v35, v34
	v_add_f16_e32 v35, v37, v60
	;; [unrolled: 1-line block ×3, first 2 shown]
	v_fma_f16 v26, v17, s13, v93
	v_pk_add_f16 v1, v7, v1
	v_mul_f16_e32 v64, 0x3abb, v38
	v_add_f16_e32 v91, v95, v91
	v_mul_f16_sdwa v95, v16, s16 dst_sel:DWORD dst_unused:UNUSED_PAD src0_sel:WORD_1 src1_sel:DWORD
	v_add_f16_e32 v34, v35, v34
	v_add_f16_e32 v35, v39, v62
	;; [unrolled: 1-line block ×3, first 2 shown]
	v_fma_f16 v26, v18, s12, v94
	v_pk_add_f16 v1, v8, v1
	v_add_f16_e32 v34, v35, v34
	v_add_f16_e32 v35, v45, v64
	;; [unrolled: 1-line block ×3, first 2 shown]
	v_fma_f16 v26, v19, s19, v95
	v_pk_add_f16 v1, v9, v1
	v_add_f16_e32 v34, v35, v34
	v_bfi_b32 v35, s26, v40, v46
	v_add_f16_e32 v25, v26, v25
	v_lshlrev_b32_e32 v26, 2, v87
	v_pk_add_f16 v1, v22, v1
	v_bfi_b32 v37, s26, v41, v47
	ds_write_b32 v26, v1
	v_pk_add_f16 v1, v35, v0 op_sel:[0,1] op_sel_hi:[1,0]
	v_bfi_b32 v39, s26, v42, v48
	v_pk_add_f16 v1, v37, v1
	v_bfi_b32 v40, s26, v43, v49
	v_pk_add_f16 v1, v39, v1
	;; [unrolled: 2-line block ×3, first 2 shown]
	v_fma_f16 v96, v19, s19, -v95
	v_pk_add_f16 v1, v41, v1
	v_add_f16_e32 v91, v96, v91
	v_alignbit_b32 v2, v34, v1, 16
	v_pack_b32_f16 v1, v23, v1
	ds_write2_b32 v26, v1, v2 offset0:1 offset1:2
	v_pack_b32_f16 v1, v67, v65
	v_pack_b32_f16 v2, v91, v69
	ds_write2_b32 v26, v2, v1 offset0:3 offset1:4
	v_pk_mul_f16 v1, v12, s22 op_sel_hi:[1,0]
	v_pk_fma_f16 v2, v10, s21, v1 op_sel:[0,0,1] op_sel_hi:[1,0,0] neg_lo:[1,0,0] neg_hi:[1,0,0]
	v_pk_mul_f16 v4, v15, s12 op_sel_hi:[1,0]
	v_alignbit_b32 v3, s0, v2, 16
	v_pk_fma_f16 v5, v11, s38, v4 op_sel:[0,0,1] op_sel_hi:[1,0,0] neg_lo:[1,0,0] neg_hi:[1,0,0]
	v_pk_add_f16 v3, v3, v0
	v_alignbit_b32 v6, s0, v5, 16
	v_pk_add_f16 v3, v6, v3
	v_pk_mul_f16 v6, v17, s19 op_sel_hi:[1,0]
	v_pk_fma_f16 v7, v13, s16, v6 op_sel:[0,0,1] op_sel_hi:[1,0,0] neg_lo:[1,0,0] neg_hi:[1,0,0]
	v_alignbit_b32 v8, s0, v7, 16
	v_pk_add_f16 v3, v8, v3
	v_pk_mul_f16 v8, v18, s13 op_sel_hi:[1,0]
	v_alignbit_b32 v52, s0, v0, 16
	v_pk_fma_f16 v9, v14, s36, v8 op_sel:[0,0,1] op_sel_hi:[1,0,0] neg_lo:[1,0,0] neg_hi:[1,0,0]
	v_pk_fma_f16 v1, v10, s21, v1 op_sel:[0,0,1] op_sel_hi:[1,0,0]
	v_alignbit_b32 v12, s0, v9, 16
	v_pk_add_f16 v2, v2, v52
	v_pk_add_f16 v0, v1, v0 op_sel:[0,1] op_sel_hi:[1,0]
	v_pk_fma_f16 v1, v11, s38, v4 op_sel:[0,0,1] op_sel_hi:[1,0,0]
	v_pk_add_f16 v3, v12, v3
	v_pk_mul_f16 v12, v19, s20 op_sel_hi:[1,0]
	v_pk_add_f16 v2, v5, v2
	v_pk_add_f16 v0, v1, v0
	v_pk_fma_f16 v1, v13, s16, v6 op_sel:[0,0,1] op_sel_hi:[1,0,0]
	v_pk_fma_f16 v15, v16, s18, v12 op_sel:[0,0,1] op_sel_hi:[1,0,0] neg_lo:[1,0,0] neg_hi:[1,0,0]
	v_pk_add_f16 v2, v7, v2
	v_pk_add_f16 v0, v1, v0
	v_pk_fma_f16 v1, v14, s36, v8 op_sel:[0,0,1] op_sel_hi:[1,0,0]
	v_alignbit_b32 v17, s0, v15, 16
	v_pk_add_f16 v2, v9, v2
	v_pk_add_f16 v0, v1, v0
	v_pk_fma_f16 v1, v16, s18, v12 op_sel:[0,0,1] op_sel_hi:[1,0,0]
	v_pk_add_f16 v3, v17, v3
	v_pk_add_f16 v2, v15, v2
	;; [unrolled: 1-line block ×3, first 2 shown]
	v_alignbit_b32 v1, v2, v0, 16
	v_pack_b32_f16 v0, v3, v0
	ds_write2_b32 v26, v0, v1 offset0:5 offset1:6
	v_pack_b32_f16 v0, v25, v24
	v_pack_b32_f16 v1, v72, v66
	s_mov_b32 s12, 0x5040100
	ds_write2_b32 v26, v1, v0 offset0:7 offset1:8
	v_perm_b32 v0, v55, v21, s12
	v_perm_b32 v1, v54, v20, s12
	ds_write2_b32 v26, v1, v0 offset0:9 offset1:10
.LBB0_7:
	s_or_b64 exec, exec, s[2:3]
	v_add_u32_e32 v0, 0x200, v73
	s_waitcnt lgkmcnt(0)
	; wave barrier
	s_waitcnt lgkmcnt(0)
	ds_read2_b32 v[39:40], v0 offset0:103 offset1:158
	v_add_u32_e32 v0, 0x600, v73
	ds_read2_b32 v[47:48], v0 offset0:78 offset1:133
	v_add_u32_e32 v0, 0x800, v73
	v_add_u32_e32 v1, 0xc00, v73
	v_add_u32_e32 v2, 0x400, v73
	ds_read2_b32 v[24:25], v73 offset1:55
	ds_read2_b32 v[49:50], v0 offset0:181 offset1:236
	ds_read2_b32 v[51:52], v1 offset0:156 offset1:211
	ds_read2_b32 v[22:23], v73 offset0:110 offset1:165
	ds_read2_b32 v[35:36], v2 offset0:85 offset1:140
	ds_read2_b32 v[33:34], v0 offset0:60 offset1:115
	ds_read2_b32 v[26:27], v1 offset0:35 offset1:90
	v_add_u32_e32 v0, 0x1000, v73
	ds_read2_b32 v[31:32], v0 offset0:10 offset1:65
	v_cmp_gt_u16_e64 s[2:3], 11, v84
                                        ; implicit-def: $vgpr37
                                        ; implicit-def: $vgpr59
                                        ; implicit-def: $vgpr57
                                        ; implicit-def: $vgpr56
                                        ; implicit-def: $vgpr58
	s_and_saveexec_b64 s[12:13], s[2:3]
	s_cbranch_execz .LBB0_9
; %bb.8:
	v_add_u32_e32 v0, 0x340, v73
	ds_read2_b32 v[20:21], v0 offset0:12 offset1:243
	v_add_u32_e32 v0, 0xa80, v73
	ds_read2_b32 v[37:38], v0 offset0:10 offset1:241
	ds_read_b32 v56, v73 offset:4576
	s_waitcnt lgkmcnt(2)
	v_lshrrev_b32_e32 v54, 16, v20
	v_lshrrev_b32_e32 v55, 16, v21
	s_waitcnt lgkmcnt(1)
	v_lshrrev_b32_e32 v59, 16, v37
	v_lshrrev_b32_e32 v57, 16, v38
	s_waitcnt lgkmcnt(0)
	v_lshrrev_b32_e32 v58, 16, v56
.LBB0_9:
	s_or_b64 exec, exec, s[12:13]
	s_movk_i32 s16, 0x75
	v_mul_lo_u16_sdwa v0, v84, s16 dst_sel:DWORD dst_unused:UNUSED_PAD src0_sel:BYTE_0 src1_sel:DWORD
	v_sub_u16_sdwa v1, v84, v0 dst_sel:DWORD dst_unused:UNUSED_PAD src0_sel:DWORD src1_sel:BYTE_1
	v_lshrrev_b16_e32 v1, 1, v1
	v_and_b32_e32 v1, 0x7f, v1
	v_add_u16_sdwa v0, v1, v0 dst_sel:DWORD dst_unused:UNUSED_PAD src0_sel:DWORD src1_sel:BYTE_1
	v_lshrrev_b16_e32 v60, 3, v0
	v_mul_lo_u16_e32 v0, 11, v60
	v_sub_u16_e32 v0, v84, v0
	v_and_b32_e32 v61, 0xff, v0
	v_lshlrev_b32_e32 v0, 4, v61
	global_load_dwordx4 v[4:7], v0, s[4:5]
	v_mul_lo_u16_sdwa v0, v53, s16 dst_sel:DWORD dst_unused:UNUSED_PAD src0_sel:BYTE_0 src1_sel:DWORD
	v_sub_u16_sdwa v1, v53, v0 dst_sel:DWORD dst_unused:UNUSED_PAD src0_sel:DWORD src1_sel:BYTE_1
	v_lshrrev_b16_e32 v1, 1, v1
	v_and_b32_e32 v1, 0x7f, v1
	v_add_u16_sdwa v0, v1, v0 dst_sel:DWORD dst_unused:UNUSED_PAD src0_sel:DWORD src1_sel:BYTE_1
	v_lshrrev_b16_e32 v64, 3, v0
	v_mul_lo_u16_e32 v0, 11, v64
	v_sub_u16_e32 v0, v53, v0
	v_and_b32_e32 v65, 0xff, v0
	s_movk_i32 s12, 0x6e
	v_lshlrev_b32_e32 v0, 4, v65
	v_add_co_u32_e32 v41, vcc, s12, v84
	global_load_dwordx4 v[8:11], v0, s[4:5]
	v_mul_lo_u16_sdwa v0, v41, s16 dst_sel:DWORD dst_unused:UNUSED_PAD src0_sel:BYTE_0 src1_sel:DWORD
	v_sub_u16_sdwa v1, v41, v0 dst_sel:DWORD dst_unused:UNUSED_PAD src0_sel:DWORD src1_sel:BYTE_1
	v_lshrrev_b16_e32 v1, 1, v1
	v_and_b32_e32 v1, 0x7f, v1
	v_add_u16_sdwa v0, v1, v0 dst_sel:DWORD dst_unused:UNUSED_PAD src0_sel:DWORD src1_sel:BYTE_1
	v_lshrrev_b16_e32 v66, 3, v0
	v_mul_lo_u16_e32 v0, 11, v66
	v_addc_co_u32_e64 v42, s[12:13], 0, 0, vcc
	v_sub_u16_e32 v0, v41, v0
	v_and_b32_e32 v67, 0xff, v0
	s_movk_i32 s12, 0xa5
	v_lshlrev_b32_e32 v0, 4, v67
	v_add_co_u32_e32 v43, vcc, s12, v84
	global_load_dwordx4 v[12:15], v0, s[4:5]
	v_mul_lo_u16_sdwa v0, v43, s16 dst_sel:DWORD dst_unused:UNUSED_PAD src0_sel:BYTE_0 src1_sel:DWORD
	v_sub_u16_sdwa v1, v43, v0 dst_sel:DWORD dst_unused:UNUSED_PAD src0_sel:DWORD src1_sel:BYTE_1
	v_lshrrev_b16_e32 v1, 1, v1
	v_and_b32_e32 v1, 0x7f, v1
	v_add_u16_sdwa v0, v1, v0 dst_sel:DWORD dst_unused:UNUSED_PAD src0_sel:DWORD src1_sel:BYTE_1
	v_lshrrev_b16_e32 v68, 3, v0
	v_mul_lo_u16_e32 v0, 11, v68
	v_sub_u16_e32 v0, v43, v0
	v_and_b32_e32 v69, 0xff, v0
	v_addc_co_u32_e64 v44, s[12:13], 0, 0, vcc
	v_lshlrev_b32_e32 v0, 4, v69
	global_load_dwordx4 v[16:19], v0, s[4:5]
	s_movk_i32 s12, 0xdc
	s_mov_b32 s16, 0xba2f
	v_add_co_u32_e32 v45, vcc, s12, v84
	v_mul_u32_u24_sdwa v0, v45, s16 dst_sel:DWORD dst_unused:UNUSED_PAD src0_sel:WORD_0 src1_sel:DWORD
	v_lshrrev_b32_e32 v0, 19, v0
	v_mul_lo_u16_e32 v0, 11, v0
	v_sub_u16_e32 v89, v45, v0
	v_lshlrev_b16_e32 v0, 2, v89
	v_lshlrev_b32_e32 v0, 2, v0
	global_load_dwordx4 v[0:3], v0, s[4:5]
	s_waitcnt lgkmcnt(9)
	v_lshrrev_b32_e32 v63, 16, v39
	s_waitcnt lgkmcnt(8)
	v_lshrrev_b32_e32 v70, 16, v47
	s_waitcnt lgkmcnt(6)
	v_lshrrev_b32_e32 v71, 16, v49
	s_waitcnt lgkmcnt(5)
	v_lshrrev_b32_e32 v72, 16, v51
	v_lshrrev_b32_e32 v90, 16, v40
	v_lshrrev_b32_e32 v91, 16, v48
	;; [unrolled: 1-line block ×4, first 2 shown]
	s_waitcnt lgkmcnt(3)
	v_lshrrev_b32_e32 v95, 16, v35
	s_waitcnt lgkmcnt(2)
	v_lshrrev_b32_e32 v96, 16, v33
	;; [unrolled: 2-line block ×4, first 2 shown]
	v_lshrrev_b32_e32 v100, 16, v36
	v_lshrrev_b32_e32 v101, 16, v34
	v_lshrrev_b32_e32 v102, 16, v27
	v_lshrrev_b32_e32 v103, 16, v32
	v_addc_co_u32_e64 v46, s[12:13], 0, 0, vcc
	s_movk_i32 s13, 0x3b9c
	s_mov_b32 s18, 0xbb9c
	s_movk_i32 s12, 0x38b4
	s_mov_b32 s19, 0xb8b4
	s_movk_i32 s16, 0x34f2
	v_lshrrev_b32_e32 v62, 16, v24
	v_lshrrev_b32_e32 v88, 16, v25
	s_waitcnt vmcnt(4)
	v_mul_f16_sdwa v104, v63, v4 dst_sel:DWORD dst_unused:UNUSED_PAD src0_sel:DWORD src1_sel:WORD_1
	v_mul_f16_sdwa v106, v70, v5 dst_sel:DWORD dst_unused:UNUSED_PAD src0_sel:DWORD src1_sel:WORD_1
	;; [unrolled: 1-line block ×3, first 2 shown]
	v_fma_f16 v39, v39, v4, -v104
	v_fma_f16 v104, v47, v5, -v106
	v_mul_f16_sdwa v47, v47, v5 dst_sel:DWORD dst_unused:UNUSED_PAD src0_sel:DWORD src1_sel:WORD_1
	v_fma_f16 v47, v70, v5, v47
	v_mul_f16_sdwa v70, v71, v6 dst_sel:DWORD dst_unused:UNUSED_PAD src0_sel:DWORD src1_sel:WORD_1
	v_fma_f16 v70, v49, v6, -v70
	v_mul_f16_sdwa v49, v49, v6 dst_sel:DWORD dst_unused:UNUSED_PAD src0_sel:DWORD src1_sel:WORD_1
	v_fma_f16 v49, v71, v6, v49
	v_mul_f16_sdwa v71, v72, v7 dst_sel:DWORD dst_unused:UNUSED_PAD src0_sel:DWORD src1_sel:WORD_1
	v_fma_f16 v71, v51, v7, -v71
	v_mul_f16_sdwa v51, v51, v7 dst_sel:DWORD dst_unused:UNUSED_PAD src0_sel:DWORD src1_sel:WORD_1
	v_fma_f16 v51, v72, v7, v51
	s_waitcnt vmcnt(3)
	v_mul_f16_sdwa v72, v90, v8 dst_sel:DWORD dst_unused:UNUSED_PAD src0_sel:DWORD src1_sel:WORD_1
	v_fma_f16 v72, v40, v8, -v72
	v_mul_f16_sdwa v40, v40, v8 dst_sel:DWORD dst_unused:UNUSED_PAD src0_sel:DWORD src1_sel:WORD_1
	v_fma_f16 v40, v90, v8, v40
	v_mul_f16_sdwa v90, v91, v9 dst_sel:DWORD dst_unused:UNUSED_PAD src0_sel:DWORD src1_sel:WORD_1
	v_fma_f16 v90, v48, v9, -v90
	v_mul_f16_sdwa v48, v48, v9 dst_sel:DWORD dst_unused:UNUSED_PAD src0_sel:DWORD src1_sel:WORD_1
	v_fma_f16 v48, v91, v9, v48
	;; [unrolled: 4-line block ×4, first 2 shown]
	s_waitcnt vmcnt(2)
	v_mul_f16_sdwa v93, v95, v12 dst_sel:DWORD dst_unused:UNUSED_PAD src0_sel:DWORD src1_sel:WORD_1
	v_fma_f16 v93, v35, v12, -v93
	v_mul_f16_sdwa v35, v35, v12 dst_sel:DWORD dst_unused:UNUSED_PAD src0_sel:DWORD src1_sel:WORD_1
	v_fma_f16 v95, v95, v12, v35
	v_mul_f16_sdwa v35, v96, v13 dst_sel:DWORD dst_unused:UNUSED_PAD src0_sel:DWORD src1_sel:WORD_1
	v_fma_f16 v63, v63, v4, v105
	v_fma_f16 v105, v33, v13, -v35
	v_mul_f16_sdwa v33, v33, v13 dst_sel:DWORD dst_unused:UNUSED_PAD src0_sel:DWORD src1_sel:WORD_1
	v_mul_f16_sdwa v35, v97, v14 dst_sel:DWORD dst_unused:UNUSED_PAD src0_sel:DWORD src1_sel:WORD_1
	v_fma_f16 v33, v96, v13, v33
	v_fma_f16 v96, v26, v14, -v35
	v_mul_f16_sdwa v26, v26, v14 dst_sel:DWORD dst_unused:UNUSED_PAD src0_sel:DWORD src1_sel:WORD_1
	v_fma_f16 v97, v97, v14, v26
	v_mul_f16_sdwa v26, v98, v15 dst_sel:DWORD dst_unused:UNUSED_PAD src0_sel:DWORD src1_sel:WORD_1
	v_fma_f16 v106, v31, v15, -v26
	v_mul_f16_sdwa v26, v31, v15 dst_sel:DWORD dst_unused:UNUSED_PAD src0_sel:DWORD src1_sel:WORD_1
	v_fma_f16 v98, v98, v15, v26
	s_waitcnt vmcnt(1)
	v_mul_f16_sdwa v26, v100, v16 dst_sel:DWORD dst_unused:UNUSED_PAD src0_sel:DWORD src1_sel:WORD_1
	v_fma_f16 v107, v36, v16, -v26
	v_mul_f16_sdwa v26, v36, v16 dst_sel:DWORD dst_unused:UNUSED_PAD src0_sel:DWORD src1_sel:WORD_1
	v_fma_f16 v100, v100, v16, v26
	v_mul_f16_sdwa v26, v101, v17 dst_sel:DWORD dst_unused:UNUSED_PAD src0_sel:DWORD src1_sel:WORD_1
	v_fma_f16 v108, v34, v17, -v26
	v_mul_f16_sdwa v26, v34, v17 dst_sel:DWORD dst_unused:UNUSED_PAD src0_sel:DWORD src1_sel:WORD_1
	v_fma_f16 v34, v101, v17, v26
	;; [unrolled: 4-line block ×4, first 2 shown]
	s_waitcnt vmcnt(0)
	v_mul_f16_sdwa v26, v55, v0 dst_sel:DWORD dst_unused:UNUSED_PAD src0_sel:DWORD src1_sel:WORD_1
	v_fma_f16 v26, v21, v0, -v26
	v_mul_f16_sdwa v21, v21, v0 dst_sel:DWORD dst_unused:UNUSED_PAD src0_sel:DWORD src1_sel:WORD_1
	v_mul_f16_sdwa v35, v38, v2 dst_sel:DWORD dst_unused:UNUSED_PAD src0_sel:DWORD src1_sel:WORD_1
	v_fma_f16 v27, v55, v0, v21
	v_mul_f16_sdwa v21, v59, v1 dst_sel:DWORD dst_unused:UNUSED_PAD src0_sel:DWORD src1_sel:WORD_1
	v_fma_f16 v36, v57, v2, v35
	v_mul_f16_sdwa v35, v58, v3 dst_sel:DWORD dst_unused:UNUSED_PAD src0_sel:DWORD src1_sel:WORD_1
	v_add_f16_e32 v55, v104, v70
	v_fma_f16 v21, v37, v1, -v21
	v_mul_f16_sdwa v31, v37, v1 dst_sel:DWORD dst_unused:UNUSED_PAD src0_sel:DWORD src1_sel:WORD_1
	v_fma_f16 v35, v56, v3, -v35
	v_mul_f16_sdwa v37, v56, v3 dst_sel:DWORD dst_unused:UNUSED_PAD src0_sel:DWORD src1_sel:WORD_1
	v_fma_f16 v55, v55, -0.5, v24
	v_sub_f16_e32 v56, v63, v51
	v_fma_f16 v32, v59, v1, v31
	v_mul_f16_sdwa v31, v57, v2 dst_sel:DWORD dst_unused:UNUSED_PAD src0_sel:DWORD src1_sel:WORD_1
	v_fma_f16 v37, v58, v3, v37
	v_fma_f16 v57, v56, s13, v55
	v_sub_f16_e32 v58, v47, v49
	v_sub_f16_e32 v59, v39, v104
	;; [unrolled: 1-line block ×3, first 2 shown]
	v_fma_f16 v55, v56, s18, v55
	v_fma_f16 v57, v58, s12, v57
	v_add_f16_e32 v59, v59, v110
	v_fma_f16 v55, v58, s19, v55
	v_fma_f16 v57, v59, s16, v57
	;; [unrolled: 1-line block ×3, first 2 shown]
	v_add_f16_e32 v59, v39, v71
	v_fma_f16 v31, v38, v2, -v31
	v_add_f16_e32 v38, v24, v39
	v_fma_f16 v24, v59, -0.5, v24
	v_add_f16_e32 v38, v38, v104
	v_fma_f16 v59, v58, s18, v24
	v_sub_f16_e32 v110, v104, v39
	v_sub_f16_e32 v111, v70, v71
	v_fma_f16 v24, v58, s13, v24
	v_add_f16_e32 v58, v47, v49
	v_add_f16_e32 v38, v38, v70
	v_fma_f16 v59, v56, s12, v59
	v_add_f16_e32 v110, v110, v111
	v_fma_f16 v24, v56, s19, v24
	v_fma_f16 v58, v58, -0.5, v62
	v_sub_f16_e32 v39, v39, v71
	v_add_f16_e32 v38, v38, v71
	v_fma_f16 v59, v110, s16, v59
	v_fma_f16 v24, v110, s16, v24
	v_fma_f16 v71, v39, s18, v58
	v_sub_f16_e32 v70, v104, v70
	v_sub_f16_e32 v104, v63, v47
	;; [unrolled: 1-line block ×3, first 2 shown]
	v_fma_f16 v58, v39, s13, v58
	v_add_f16_e32 v56, v62, v63
	v_fma_f16 v71, v70, s19, v71
	v_add_f16_e32 v104, v104, v110
	;; [unrolled: 2-line block ×3, first 2 shown]
	v_fma_f16 v71, v104, s16, v71
	v_fma_f16 v58, v104, s16, v58
	v_add_f16_e32 v104, v63, v51
	v_add_f16_e32 v56, v56, v49
	v_fma_f16 v62, v104, -0.5, v62
	v_add_f16_e32 v56, v56, v51
	v_fma_f16 v104, v70, s13, v62
	v_sub_f16_e32 v49, v49, v51
	v_fma_f16 v51, v70, s18, v62
	v_fma_f16 v104, v39, s19, v104
	v_sub_f16_e32 v47, v47, v63
	v_fma_f16 v39, v39, s12, v51
	v_add_f16_e32 v51, v90, v91
	v_add_f16_e32 v47, v47, v49
	v_fma_f16 v51, v51, -0.5, v25
	v_sub_f16_e32 v62, v40, v52
	v_fma_f16 v49, v47, s16, v104
	v_fma_f16 v63, v62, s13, v51
	v_sub_f16_e32 v70, v48, v50
	v_sub_f16_e32 v104, v72, v90
	;; [unrolled: 1-line block ×3, first 2 shown]
	v_fma_f16 v51, v62, s18, v51
	v_fma_f16 v63, v70, s12, v63
	v_add_f16_e32 v104, v104, v110
	v_fma_f16 v51, v70, s19, v51
	v_fma_f16 v63, v104, s16, v63
	;; [unrolled: 1-line block ×3, first 2 shown]
	v_add_f16_e32 v104, v72, v92
	v_fma_f16 v39, v47, s16, v39
	v_add_f16_e32 v47, v25, v72
	v_fma_f16 v25, v104, -0.5, v25
	v_add_f16_e32 v47, v47, v90
	v_fma_f16 v104, v70, s18, v25
	v_fma_f16 v25, v70, s13, v25
	v_add_f16_e32 v70, v48, v50
	v_add_f16_e32 v47, v47, v91
	v_sub_f16_e32 v110, v90, v72
	v_sub_f16_e32 v111, v91, v92
	v_fma_f16 v70, v70, -0.5, v88
	v_sub_f16_e32 v72, v72, v92
	v_add_f16_e32 v47, v47, v92
	v_fma_f16 v104, v62, s12, v104
	v_add_f16_e32 v110, v110, v111
	v_fma_f16 v25, v62, s19, v25
	v_fma_f16 v92, v72, s18, v70
	v_sub_f16_e32 v90, v90, v91
	v_fma_f16 v104, v110, s16, v104
	v_fma_f16 v25, v110, s16, v25
	v_fma_f16 v91, v90, s19, v92
	v_sub_f16_e32 v92, v40, v48
	v_sub_f16_e32 v110, v52, v50
	v_add_f16_e32 v62, v88, v40
	v_add_f16_e32 v92, v92, v110
	;; [unrolled: 1-line block ×3, first 2 shown]
	v_fma_f16 v110, v92, s16, v91
	v_add_f16_e32 v91, v40, v52
	v_add_f16_e32 v62, v62, v50
	v_fma_f16 v88, v91, -0.5, v88
	v_add_f16_e32 v62, v62, v52
	v_fma_f16 v70, v72, s13, v70
	v_fma_f16 v91, v90, s13, v88
	v_sub_f16_e32 v40, v48, v40
	v_sub_f16_e32 v48, v50, v52
	v_fma_f16 v50, v90, s18, v88
	v_add_f16_e32 v52, v105, v96
	v_fma_f16 v70, v90, s12, v70
	v_fma_f16 v91, v72, s19, v91
	v_add_f16_e32 v40, v40, v48
	v_fma_f16 v50, v72, s12, v50
	v_fma_f16 v52, v52, -0.5, v22
	v_sub_f16_e32 v72, v95, v98
	v_fma_f16 v70, v92, s16, v70
	v_fma_f16 v48, v40, s16, v91
	v_fma_f16 v88, v72, s13, v52
	v_sub_f16_e32 v90, v33, v97
	v_sub_f16_e32 v91, v93, v105
	;; [unrolled: 1-line block ×3, first 2 shown]
	v_fma_f16 v88, v90, s12, v88
	v_add_f16_e32 v91, v91, v92
	v_fma_f16 v111, v91, s16, v88
	v_fma_f16 v52, v72, s18, v52
	v_add_f16_e32 v88, v93, v106
	v_lshrrev_b32_e32 v94, 16, v22
	v_fma_f16 v40, v40, s16, v50
	v_add_f16_e32 v50, v22, v93
	v_fma_f16 v52, v90, s19, v52
	v_fma_f16 v22, v88, -0.5, v22
	v_fma_f16 v52, v91, s16, v52
	v_fma_f16 v88, v90, s18, v22
	v_sub_f16_e32 v91, v105, v93
	v_sub_f16_e32 v92, v96, v106
	v_fma_f16 v88, v72, s12, v88
	v_add_f16_e32 v91, v91, v92
	v_fma_f16 v112, v91, s16, v88
	v_fma_f16 v22, v90, s13, v22
	v_add_f16_e32 v88, v33, v97
	v_add_f16_e32 v50, v50, v105
	v_fma_f16 v22, v72, s19, v22
	v_fma_f16 v88, v88, -0.5, v94
	v_sub_f16_e32 v90, v93, v106
	v_add_f16_e32 v50, v50, v96
	v_fma_f16 v22, v91, s16, v22
	v_fma_f16 v91, v90, s18, v88
	v_sub_f16_e32 v92, v105, v96
	v_sub_f16_e32 v93, v95, v33
	;; [unrolled: 1-line block ×3, first 2 shown]
	v_fma_f16 v88, v90, s13, v88
	v_add_f16_e32 v93, v93, v96
	v_fma_f16 v88, v92, s12, v88
	v_fma_f16 v105, v93, s16, v88
	v_add_f16_e32 v88, v95, v98
	v_add_f16_e32 v72, v94, v95
	v_fma_f16 v91, v92, s19, v91
	v_fma_f16 v88, v88, -0.5, v94
	v_add_f16_e32 v72, v72, v33
	v_fma_f16 v96, v93, s16, v91
	v_fma_f16 v91, v92, s13, v88
	v_sub_f16_e32 v33, v33, v95
	v_sub_f16_e32 v93, v97, v98
	v_fma_f16 v88, v92, s18, v88
	v_fma_f16 v91, v90, s19, v91
	v_add_f16_e32 v33, v33, v93
	v_fma_f16 v88, v90, s12, v88
	v_add_f16_e32 v50, v50, v106
	v_add_f16_e32 v72, v72, v97
	v_fma_f16 v97, v33, s16, v91
	v_fma_f16 v106, v33, s16, v88
	v_add_f16_e32 v33, v23, v107
	v_add_f16_e32 v33, v33, v108
	;; [unrolled: 1-line block ×5, first 2 shown]
	v_fma_f16 v33, v33, -0.5, v23
	v_sub_f16_e32 v88, v100, v103
	v_fma_f16 v90, v88, s13, v33
	v_sub_f16_e32 v91, v34, v102
	v_sub_f16_e32 v92, v107, v108
	v_sub_f16_e32 v93, v109, v101
	v_fma_f16 v33, v88, s18, v33
	v_add_f16_e32 v92, v92, v93
	v_fma_f16 v33, v91, s19, v33
	v_fma_f16 v115, v92, s16, v33
	v_add_f16_e32 v33, v107, v109
	v_lshrrev_b32_e32 v99, 16, v23
	v_fma_f16 v90, v91, s12, v90
	v_fma_f16 v23, v33, -0.5, v23
	v_fma_f16 v114, v92, s16, v90
	v_fma_f16 v33, v91, s18, v23
	v_sub_f16_e32 v90, v108, v107
	v_sub_f16_e32 v92, v101, v109
	v_fma_f16 v33, v88, s12, v33
	v_add_f16_e32 v90, v90, v92
	v_fma_f16 v116, v90, s16, v33
	v_add_f16_e32 v33, v99, v100
	v_add_f16_e32 v33, v33, v34
	v_add_f16_e32 v33, v33, v102
	v_fma_f16 v23, v91, s13, v23
	v_add_f16_e32 v117, v33, v103
	v_add_f16_e32 v33, v34, v102
	v_fma_f16 v23, v88, s19, v23
	v_fma_f16 v33, v33, -0.5, v99
	v_sub_f16_e32 v88, v107, v109
	v_fma_f16 v23, v90, s16, v23
	v_fma_f16 v90, v88, s18, v33
	v_sub_f16_e32 v91, v108, v101
	v_sub_f16_e32 v92, v100, v34
	;; [unrolled: 1-line block ×3, first 2 shown]
	v_fma_f16 v33, v88, s13, v33
	v_add_f16_e32 v92, v92, v93
	v_fma_f16 v33, v91, s12, v33
	v_fma_f16 v107, v92, s16, v33
	v_add_f16_e32 v33, v100, v103
	v_fma_f16 v90, v91, s19, v90
	v_fma_f16 v33, v33, -0.5, v99
	v_fma_f16 v101, v92, s16, v90
	v_fma_f16 v90, v91, s13, v33
	v_sub_f16_e32 v34, v34, v100
	v_sub_f16_e32 v92, v102, v103
	v_fma_f16 v33, v91, s18, v33
	v_add_f16_e32 v34, v34, v92
	v_fma_f16 v33, v88, s12, v33
	v_fma_f16 v90, v88, s19, v90
	v_fma_f16 v102, v34, s16, v33
	v_add_f16_e32 v33, v21, v31
	v_fma_f16 v100, v34, s16, v90
	v_fma_f16 v33, v33, -0.5, v20
	v_sub_f16_e32 v34, v27, v37
	v_fma_f16 v88, v34, s13, v33
	v_sub_f16_e32 v90, v32, v36
	v_sub_f16_e32 v91, v26, v21
	;; [unrolled: 1-line block ×3, first 2 shown]
	v_fma_f16 v33, v34, s18, v33
	v_fma_f16 v88, v90, s12, v88
	v_add_f16_e32 v91, v91, v92
	v_fma_f16 v33, v90, s19, v33
	v_add_f16_e32 v72, v72, v98
	v_fma_f16 v98, v91, s16, v88
	v_fma_f16 v88, v91, s16, v33
	v_add_f16_e32 v33, v26, v35
	v_fma_f16 v91, v33, -0.5, v20
	v_fma_f16 v33, v90, s18, v91
	v_sub_f16_e32 v92, v21, v26
	v_sub_f16_e32 v93, v31, v35
	v_fma_f16 v90, v90, s13, v91
	v_fma_f16 v33, v34, s12, v33
	v_add_f16_e32 v92, v92, v93
	v_fma_f16 v34, v34, s19, v90
	v_add_f16_e32 v90, v32, v36
	v_fma_f16 v33, v92, s16, v33
	v_fma_f16 v34, v92, s16, v34
	v_fma_f16 v90, v90, -0.5, v54
	v_sub_f16_e32 v92, v26, v35
	v_fma_f16 v91, v92, s18, v90
	v_sub_f16_e32 v93, v21, v31
	v_sub_f16_e32 v94, v27, v32
	;; [unrolled: 1-line block ×3, first 2 shown]
	v_fma_f16 v91, v93, s19, v91
	v_add_f16_e32 v94, v94, v95
	v_fma_f16 v90, v92, s13, v90
	v_fma_f16 v99, v94, s16, v91
	;; [unrolled: 1-line block ×3, first 2 shown]
	v_add_f16_e32 v91, v27, v37
	v_fma_f16 v90, v94, s16, v90
	v_fma_f16 v94, v91, -0.5, v54
	v_fma_f16 v91, v93, s13, v94
	v_fma_f16 v93, v93, s18, v94
	v_mul_u32_u24_e32 v60, 55, v60
	v_fma_f16 v91, v92, s19, v91
	v_fma_f16 v92, v92, s12, v93
	v_add_lshl_u32 v93, v60, v61, 2
	v_pack_b32_f16 v38, v38, v56
	v_pack_b32_f16 v56, v57, v71
	s_waitcnt lgkmcnt(0)
	; wave barrier
	ds_write2_b32 v93, v38, v56 offset1:11
	v_pack_b32_f16 v38, v59, v49
	v_pack_b32_f16 v24, v24, v39
	ds_write2_b32 v93, v38, v24 offset0:22 offset1:33
	v_pack_b32_f16 v24, v55, v58
	ds_write_b32 v93, v24 offset:176
	v_mul_u32_u24_e32 v24, 55, v64
	v_add_lshl_u32 v94, v24, v65, 2
	v_pack_b32_f16 v24, v47, v62
	v_pack_b32_f16 v38, v63, v110
	ds_write2_b32 v94, v24, v38 offset1:11
	v_pack_b32_f16 v24, v104, v48
	v_pack_b32_f16 v25, v25, v40
	v_sub_f16_e32 v95, v32, v27
	v_sub_f16_e32 v103, v36, v37
	ds_write2_b32 v94, v24, v25 offset0:22 offset1:33
	v_pack_b32_f16 v24, v51, v70
	v_add_f16_e32 v95, v95, v103
	ds_write_b32 v94, v24 offset:176
	v_mul_u32_u24_e32 v24, 55, v66
	v_fma_f16 v91, v95, s16, v91
	v_fma_f16 v92, v95, s16, v92
	v_add_lshl_u32 v95, v24, v67, 2
	v_pack_b32_f16 v24, v50, v72
	v_pack_b32_f16 v25, v111, v96
	ds_write2_b32 v95, v24, v25 offset1:11
	v_pack_b32_f16 v24, v112, v97
	v_pack_b32_f16 v22, v22, v106
	ds_write2_b32 v95, v24, v22 offset0:22 offset1:33
	v_pack_b32_f16 v22, v52, v105
	ds_write_b32 v95, v22 offset:176
	v_mul_u32_u24_e32 v22, 55, v68
	v_add_lshl_u32 v96, v22, v69, 2
	v_pack_b32_f16 v22, v113, v117
	v_pack_b32_f16 v24, v114, v101
	ds_write2_b32 v96, v22, v24 offset1:11
	v_pack_b32_f16 v22, v116, v100
	v_pack_b32_f16 v23, v23, v102
	ds_write2_b32 v96, v22, v23 offset0:22 offset1:33
	v_pack_b32_f16 v22, v115, v107
	v_lshlrev_b32_e32 v89, 2, v89
	ds_write_b32 v96, v22 offset:176
	s_and_saveexec_b64 s[12:13], s[2:3]
	s_cbranch_execz .LBB0_11
; %bb.10:
	v_add_f16_e32 v22, v54, v27
	v_add_f16_e32 v20, v20, v26
	;; [unrolled: 1-line block ×8, first 2 shown]
	s_mov_b32 s16, 0x5040100
	v_pack_b32_f16 v20, v20, v22
	v_perm_b32 v21, v99, v98, s16
	v_add_u32_e32 v22, 0x1000, v89
	ds_write2_b32 v22, v20, v21 offset0:76 offset1:87
	v_perm_b32 v20, v91, v33, s16
	v_perm_b32 v21, v92, v34, s16
	ds_write2_b32 v22, v20, v21 offset0:98 offset1:109
	v_perm_b32 v20, v90, v88, s16
	ds_write_b32 v89, v20 offset:4576
.LBB0_11:
	s_or_b64 exec, exec, s[12:13]
	v_mad_u64_u32 v[24:25], s[12:13], v84, 24, s[4:5]
	s_movk_i32 s12, 0x95
	s_waitcnt lgkmcnt(0)
	; wave barrier
	s_waitcnt lgkmcnt(0)
	global_load_dwordx4 v[20:23], v[24:25], off offset:176
	global_load_dwordx2 v[31:32], v[24:25], off offset:192
	v_mul_lo_u16_sdwa v24, v41, s12 dst_sel:DWORD dst_unused:UNUSED_PAD src0_sel:BYTE_0 src1_sel:DWORD
	v_lshrrev_b16_e32 v24, 13, v24
	v_mul_lo_u16_e32 v24, 55, v24
	v_sub_u16_e32 v24, v41, v24
	v_and_b32_e32 v50, 0xff, v24
	v_mad_u64_u32 v[35:36], s[12:13], v50, 24, s[4:5]
	ds_read2_b32 v[37:38], v73 offset1:55
	ds_read2_b32 v[39:40], v73 offset0:110 offset1:165
	v_add_u32_e32 v63, 0x400, v73
	global_load_dwordx4 v[24:27], v[35:36], off offset:176
	v_add_u32_e32 v67, 0x800, v73
	v_add_u32_e32 v71, 0xc00, v73
	;; [unrolled: 1-line block ×4, first 2 shown]
	ds_read_b32 v52, v73 offset:4400
	ds_read2_b32 v[47:48], v63 offset0:74 offset1:129
	ds_read2_b32 v[54:55], v63 offset0:184 offset1:239
	;; [unrolled: 1-line block ×8, first 2 shown]
	global_load_dwordx2 v[35:36], v[35:36], off offset:192
	s_waitcnt lgkmcnt(9)
	v_lshrrev_b32_e32 v62, 16, v40
	s_waitcnt lgkmcnt(5)
	v_lshrrev_b32_e32 v108, 16, v57
	;; [unrolled: 2-line block ×4, first 2 shown]
	v_lshrrev_b32_e32 v111, 16, v69
	v_lshrrev_b32_e32 v112, 16, v54
	;; [unrolled: 1-line block ×13, first 2 shown]
	s_movk_i32 s12, 0x2b26
	s_movk_i32 s13, 0x3b00
	s_mov_b32 s16, 0xbcab
	s_movk_i32 s18, 0x39e0
	s_mov_b32 s19, 0xb9e0
	;; [unrolled: 2-line block ×3, first 2 shown]
	v_lshrrev_b32_e32 v107, 16, v100
	s_movk_i32 s22, 0x370e
	s_waitcnt lgkmcnt(0)
	; wave barrier
	v_lshlrev_b32_e32 v49, 3, v84
	v_lshlrev_b64 v[41:42], 3, v[41:42]
	v_lshlrev_b64 v[43:44], 3, v[43:44]
	v_add_co_u32_e32 v41, vcc, s4, v41
	v_lshlrev_b64 v[45:46], 3, v[45:46]
	s_waitcnt vmcnt(3)
	v_mul_f16_sdwa v116, v62, v20 dst_sel:DWORD dst_unused:UNUSED_PAD src0_sel:DWORD src1_sel:WORD_1
	v_mul_f16_sdwa v117, v40, v20 dst_sel:DWORD dst_unused:UNUSED_PAD src0_sel:DWORD src1_sel:WORD_1
	v_fma_f16 v40, v40, v20, -v116
	v_mul_f16_sdwa v116, v108, v23 dst_sel:DWORD dst_unused:UNUSED_PAD src0_sel:DWORD src1_sel:WORD_1
	v_fma_f16 v116, v57, v23, -v116
	v_mul_f16_sdwa v57, v57, v23 dst_sel:DWORD dst_unused:UNUSED_PAD src0_sel:DWORD src1_sel:WORD_1
	v_fma_f16 v57, v108, v23, v57
	s_waitcnt vmcnt(2)
	v_mul_f16_sdwa v108, v109, v31 dst_sel:DWORD dst_unused:UNUSED_PAD src0_sel:DWORD src1_sel:WORD_1
	v_fma_f16 v108, v102, v31, -v108
	v_mul_f16_sdwa v102, v102, v31 dst_sel:DWORD dst_unused:UNUSED_PAD src0_sel:DWORD src1_sel:WORD_1
	v_fma_f16 v102, v109, v31, v102
	v_mul_f16_sdwa v109, v110, v32 dst_sel:DWORD dst_unused:UNUSED_PAD src0_sel:DWORD src1_sel:WORD_1
	v_fma_f16 v109, v61, v32, -v109
	v_mul_f16_sdwa v61, v61, v32 dst_sel:DWORD dst_unused:UNUSED_PAD src0_sel:DWORD src1_sel:WORD_1
	v_fma_f16 v61, v110, v32, v61
	s_waitcnt vmcnt(1)
	v_mul_f16_sdwa v110, v111, v24 dst_sel:DWORD dst_unused:UNUSED_PAD src0_sel:DWORD src1_sel:WORD_1
	v_fma_f16 v110, v69, v24, -v110
	v_mul_f16_sdwa v69, v69, v24 dst_sel:DWORD dst_unused:UNUSED_PAD src0_sel:DWORD src1_sel:WORD_1
	v_fma_f16 v69, v111, v24, v69
	v_mul_f16_sdwa v111, v112, v25 dst_sel:DWORD dst_unused:UNUSED_PAD src0_sel:DWORD src1_sel:WORD_1
	v_fma_f16 v111, v54, v25, -v111
	v_mul_f16_sdwa v54, v54, v25 dst_sel:DWORD dst_unused:UNUSED_PAD src0_sel:DWORD src1_sel:WORD_1
	v_fma_f16 v54, v112, v25, v54
	;; [unrolled: 4-line block ×4, first 2 shown]
	s_waitcnt vmcnt(0)
	v_mul_f16_sdwa v114, v115, v35 dst_sel:DWORD dst_unused:UNUSED_PAD src0_sel:DWORD src1_sel:WORD_1
	v_fma_f16 v114, v103, v35, -v114
	v_mul_f16_sdwa v103, v103, v35 dst_sel:DWORD dst_unused:UNUSED_PAD src0_sel:DWORD src1_sel:WORD_1
	v_mul_f16_sdwa v118, v66, v21 dst_sel:DWORD dst_unused:UNUSED_PAD src0_sel:DWORD src1_sel:WORD_1
	;; [unrolled: 1-line block ×7, first 2 shown]
	v_fma_f16 v103, v115, v35, v103
	v_mul_f16_sdwa v115, v64, v36 dst_sel:DWORD dst_unused:UNUSED_PAD src0_sel:DWORD src1_sel:WORD_1
	v_mul_f16_sdwa v120, v70, v22 dst_sel:DWORD dst_unused:UNUSED_PAD src0_sel:DWORD src1_sel:WORD_1
	;; [unrolled: 1-line block ×5, first 2 shown]
	v_fma_f16 v62, v62, v20, v117
	v_fma_f16 v47, v47, v21, -v118
	v_fma_f16 v66, v66, v21, v119
	v_fma_f16 v59, v59, v31, -v124
	;; [unrolled: 2-line block ×4, first 2 shown]
	v_mul_f16_sdwa v52, v52, v36 dst_sel:DWORD dst_unused:UNUSED_PAD src0_sel:DWORD src1_sel:WORD_1
	v_fma_f16 v55, v55, v22, -v120
	v_fma_f16 v70, v70, v22, v121
	v_fma_f16 v56, v56, v23, -v122
	v_fma_f16 v72, v72, v23, v123
	v_fma_f16 v52, v64, v36, v52
	v_add_f16_e32 v64, v40, v60
	v_add_f16_e32 v117, v62, v104
	v_sub_f16_e32 v40, v40, v60
	v_sub_f16_e32 v60, v62, v104
	v_add_f16_e32 v62, v47, v59
	v_add_f16_e32 v104, v66, v97
	v_sub_f16_e32 v47, v47, v59
	v_sub_f16_e32 v59, v66, v97
	;; [unrolled: 4-line block ×4, first 2 shown]
	v_sub_f16_e32 v64, v64, v66
	v_sub_f16_e32 v117, v117, v97
	v_sub_f16_e32 v62, v66, v62
	v_sub_f16_e32 v104, v97, v104
	v_add_f16_e32 v120, v55, v47
	v_add_f16_e32 v121, v56, v59
	v_sub_f16_e32 v122, v55, v47
	v_sub_f16_e32 v123, v56, v59
	;; [unrolled: 1-line block ×4, first 2 shown]
	v_add_f16_e32 v66, v66, v70
	v_add_f16_e32 v70, v97, v72
	v_sub_f16_e32 v55, v40, v55
	v_sub_f16_e32 v56, v60, v56
	v_add_f16_e32 v40, v120, v40
	v_add_f16_e32 v60, v121, v60
	;; [unrolled: 1-line block ×3, first 2 shown]
	v_add_f16_sdwa v37, v37, v70 dst_sel:DWORD dst_unused:UNUSED_PAD src0_sel:WORD_1 src1_sel:DWORD
	v_mul_f16_e32 v64, 0x3a52, v64
	v_mul_f16_e32 v97, 0x3a52, v117
	;; [unrolled: 1-line block ×8, first 2 shown]
	v_mul_f16_sdwa v128, v105, v20 dst_sel:DWORD dst_unused:UNUSED_PAD src0_sel:DWORD src1_sel:WORD_1
	v_mul_f16_sdwa v129, v68, v20 dst_sel:DWORD dst_unused:UNUSED_PAD src0_sel:DWORD src1_sel:WORD_1
	;; [unrolled: 1-line block ×4, first 2 shown]
	v_fma_f16 v66, v66, s16, v72
	v_fma_f16 v70, v70, s16, v37
	v_fma_f16 v62, v62, s12, v64
	v_fma_f16 v104, v104, s12, v97
	v_fma_f16 v117, v118, s18, -v117
	v_fma_f16 v120, v119, s18, -v120
	;; [unrolled: 1-line block ×4, first 2 shown]
	v_fma_f16 v118, v55, s20, v121
	v_fma_f16 v119, v56, s20, v122
	v_fma_f16 v47, v47, s13, -v121
	v_fma_f16 v55, v55, s21, -v123
	;; [unrolled: 1-line block ×3, first 2 shown]
	v_mul_f16_sdwa v132, v107, v22 dst_sel:DWORD dst_unused:UNUSED_PAD src0_sel:DWORD src1_sel:WORD_1
	v_mul_f16_sdwa v133, v100, v22 dst_sel:DWORD dst_unused:UNUSED_PAD src0_sel:DWORD src1_sel:WORD_1
	v_fma_f16 v68, v68, v20, -v128
	v_fma_f16 v105, v105, v20, v129
	v_fma_f16 v48, v48, v21, -v130
	v_fma_f16 v106, v106, v21, v131
	v_fma_f16 v59, v59, s13, -v122
	v_add_f16_e32 v62, v62, v66
	v_add_f16_e32 v104, v104, v70
	v_add_f16_e32 v117, v117, v66
	v_add_f16_e32 v120, v120, v70
	v_add_f16_e32 v64, v64, v66
	v_add_f16_e32 v66, v97, v70
	v_fma_f16 v70, v40, s22, v118
	v_fma_f16 v97, v60, s22, v119
	;; [unrolled: 1-line block ×5, first 2 shown]
	v_fma_f16 v100, v100, v22, -v132
	v_fma_f16 v107, v107, v22, v133
	v_fma_f16 v59, v60, s22, v59
	v_add_f16_e32 v56, v97, v62
	v_sub_f16_e32 v60, v104, v70
	v_add_f16_e32 v118, v55, v64
	v_sub_f16_e32 v119, v66, v40
	v_sub_f16_e32 v55, v64, v55
	v_add_f16_e32 v40, v40, v66
	v_sub_f16_e32 v62, v62, v97
	v_add_f16_e32 v64, v70, v104
	v_add_f16_e32 v66, v68, v109
	;; [unrolled: 1-line block ×5, first 2 shown]
	v_sub_f16_e32 v68, v68, v109
	v_sub_f16_e32 v61, v105, v61
	;; [unrolled: 1-line block ×4, first 2 shown]
	v_add_f16_e32 v105, v100, v116
	v_add_f16_e32 v106, v107, v57
	v_sub_f16_e32 v100, v116, v100
	v_sub_f16_e32 v57, v57, v107
	v_add_f16_e32 v107, v97, v66
	v_add_f16_e32 v108, v104, v70
	v_sub_f16_e32 v121, v117, v59
	v_add_f16_e32 v122, v47, v120
	v_add_f16_e32 v59, v59, v117
	v_sub_f16_e32 v47, v120, v47
	v_sub_f16_e32 v109, v97, v66
	;; [unrolled: 1-line block ×7, first 2 shown]
	v_add_f16_e32 v117, v100, v48
	v_add_f16_e32 v120, v57, v102
	v_sub_f16_e32 v123, v100, v48
	v_sub_f16_e32 v124, v57, v102
	;; [unrolled: 1-line block ×4, first 2 shown]
	v_add_f16_e32 v105, v105, v107
	v_add_f16_e32 v106, v106, v108
	v_sub_f16_e32 v100, v68, v100
	v_sub_f16_e32 v57, v61, v57
	v_add_f16_e32 v68, v117, v68
	v_add_f16_e32 v61, v120, v61
	;; [unrolled: 1-line block ×3, first 2 shown]
	v_add_f16_sdwa v38, v38, v106 dst_sel:DWORD dst_unused:UNUSED_PAD src0_sel:WORD_1 src1_sel:DWORD
	v_mul_f16_e32 v66, 0x3a52, v66
	v_mul_f16_e32 v70, 0x3a52, v70
	;; [unrolled: 1-line block ×8, first 2 shown]
	v_fma_f16 v105, v105, s16, v107
	v_fma_f16 v106, v106, s16, v38
	;; [unrolled: 1-line block ×4, first 2 shown]
	v_fma_f16 v108, v109, s18, -v108
	v_fma_f16 v117, v116, s18, -v117
	;; [unrolled: 1-line block ×4, first 2 shown]
	v_fma_f16 v109, v100, s20, v120
	v_fma_f16 v116, v57, s20, v123
	v_fma_f16 v48, v48, s13, -v120
	v_fma_f16 v100, v100, s21, -v124
	;; [unrolled: 1-line block ×4, first 2 shown]
	v_add_f16_e32 v97, v97, v105
	v_add_f16_e32 v104, v104, v106
	;; [unrolled: 1-line block ×6, first 2 shown]
	v_fma_f16 v105, v68, s22, v109
	v_fma_f16 v106, v61, s22, v116
	;; [unrolled: 1-line block ×6, first 2 shown]
	v_add_f16_e32 v61, v106, v97
	v_sub_f16_e32 v100, v104, v105
	v_add_f16_e32 v109, v57, v66
	v_sub_f16_e32 v116, v70, v68
	v_sub_f16_e32 v57, v66, v57
	v_add_f16_e32 v66, v68, v70
	v_sub_f16_e32 v68, v97, v106
	v_add_f16_e32 v70, v105, v104
	v_add_f16_e32 v97, v110, v115
	;; [unrolled: 1-line block ×3, first 2 shown]
	v_sub_f16_e32 v52, v69, v52
	v_add_f16_e32 v69, v111, v114
	v_add_f16_e32 v106, v54, v103
	v_pack_b32_f16 v37, v72, v37
	v_pack_b32_f16 v56, v56, v60
	v_sub_f16_e32 v120, v108, v102
	v_add_f16_e32 v102, v102, v108
	v_sub_f16_e32 v105, v110, v115
	v_sub_f16_e32 v108, v111, v114
	v_sub_f16_e32 v54, v54, v103
	v_add_f16_e32 v103, v112, v113
	v_add_f16_e32 v110, v101, v58
	v_sub_f16_e32 v111, v113, v112
	v_sub_f16_e32 v58, v58, v101
	v_add_f16_e32 v101, v69, v97
	v_add_f16_e32 v112, v106, v104
	ds_write2_b32 v73, v37, v56 offset1:55
	v_pack_b32_f16 v37, v118, v119
	v_pack_b32_f16 v56, v121, v122
	v_add_f16_e32 v123, v48, v117
	v_sub_f16_e32 v48, v117, v48
	v_sub_f16_e32 v113, v69, v97
	;; [unrolled: 1-line block ×7, first 2 shown]
	v_add_f16_e32 v115, v111, v108
	v_add_f16_e32 v117, v58, v54
	v_sub_f16_e32 v124, v111, v108
	v_sub_f16_e32 v125, v58, v54
	;; [unrolled: 1-line block ×3, first 2 shown]
	v_add_f16_e32 v101, v103, v101
	v_add_f16_e32 v103, v110, v112
	ds_write2_b32 v73, v37, v56 offset0:110 offset1:165
	v_pack_b32_f16 v37, v59, v47
	v_pack_b32_f16 v40, v55, v40
	v_sub_f16_e32 v111, v105, v111
	v_sub_f16_e32 v58, v52, v58
	v_sub_f16_e32 v108, v108, v105
	v_add_f16_e32 v105, v115, v105
	v_add_f16_e32 v52, v117, v52
	v_add_f16_e32 v110, v39, v101
	v_add_f16_sdwa v39, v39, v103 dst_sel:DWORD dst_unused:UNUSED_PAD src0_sel:WORD_1 src1_sel:DWORD
	v_mul_f16_e32 v97, 0x3a52, v97
	v_mul_f16_e32 v104, 0x3a52, v104
	;; [unrolled: 1-line block ×7, first 2 shown]
	ds_write2_b32 v65, v37, v40 offset0:92 offset1:147
	v_pack_b32_f16 v37, v62, v64
	v_pack_b32_f16 v38, v107, v38
	v_mul_f16_e32 v125, 0x3b00, v108
	v_fma_f16 v101, v101, s16, v110
	v_fma_f16 v103, v103, s16, v39
	;; [unrolled: 1-line block ×4, first 2 shown]
	v_fma_f16 v112, v113, s18, -v112
	v_fma_f16 v115, v114, s18, -v115
	;; [unrolled: 1-line block ×4, first 2 shown]
	v_fma_f16 v113, v111, s20, v117
	v_fma_f16 v114, v58, s20, v124
	v_fma_f16 v54, v54, s13, -v124
	v_fma_f16 v58, v58, s21, -v126
	ds_write2_b32 v63, v37, v38 offset0:74 offset1:129
	v_pack_b32_f16 v37, v61, v100
	v_pack_b32_f16 v38, v109, v116
	v_fma_f16 v108, v108, s13, -v117
	v_fma_f16 v111, v111, s21, -v125
	v_add_f16_e32 v69, v69, v101
	v_add_f16_e32 v106, v106, v103
	;; [unrolled: 1-line block ×6, first 2 shown]
	v_fma_f16 v103, v105, s22, v113
	v_fma_f16 v104, v52, s22, v114
	;; [unrolled: 1-line block ×4, first 2 shown]
	ds_write2_b32 v63, v37, v38 offset0:184 offset1:239
	v_pack_b32_f16 v37, v120, v123
	v_pack_b32_f16 v38, v102, v48
	v_fma_f16 v108, v105, s22, v108
	v_fma_f16 v105, v105, s22, v111
	v_add_f16_e32 v58, v104, v69
	v_sub_f16_e32 v111, v106, v103
	v_add_f16_e32 v113, v52, v97
	v_sub_f16_e32 v52, v97, v52
	ds_write2_b32 v67, v37, v38 offset0:38 offset1:93
	v_pack_b32_f16 v37, v57, v66
	v_pack_b32_f16 v38, v68, v70
	v_lshlrev_b32_e32 v97, 2, v50
	v_sub_f16_e32 v114, v101, v105
	v_sub_f16_e32 v117, v112, v54
	v_add_f16_e32 v124, v108, v115
	ds_write2_b32 v67, v37, v38 offset0:148 offset1:203
	v_pack_b32_f16 v37, v110, v39
	v_pack_b32_f16 v38, v58, v111
	v_add_u32_e32 v39, 0xc00, v97
	v_add_f16_e32 v54, v54, v112
	v_sub_f16_e32 v108, v115, v108
	v_add_f16_e32 v101, v105, v101
	ds_write2_b32 v39, v37, v38 offset0:2 offset1:57
	v_pack_b32_f16 v37, v113, v114
	v_pack_b32_f16 v38, v117, v124
	v_sub_f16_e32 v69, v69, v104
	v_add_f16_e32 v103, v103, v106
	ds_write2_b32 v39, v37, v38 offset0:112 offset1:167
	v_pack_b32_f16 v37, v54, v108
	v_pack_b32_f16 v38, v52, v101
	v_add_u32_e32 v39, 0xe00, v97
	ds_write2_b32 v39, v37, v38 offset0:94 offset1:149
	v_pack_b32_f16 v37, v69, v103
	ds_write_b32 v97, v37 offset:4400
	s_waitcnt lgkmcnt(0)
	; wave barrier
	s_waitcnt lgkmcnt(0)
	global_load_dwordx2 v[37:38], v49, s[4:5] offset:1496
	v_lshlrev_b32_e32 v39, 3, v53
	global_load_dwordx2 v[39:40], v39, s[4:5] offset:1496
	v_mov_b32_e32 v47, s5
	v_addc_co_u32_e32 v42, vcc, v47, v42, vcc
	global_load_dwordx2 v[41:42], v[41:42], off offset:1496
	v_add_co_u32_e32 v43, vcc, s4, v43
	v_addc_co_u32_e32 v44, vcc, v47, v44, vcc
	global_load_dwordx2 v[43:44], v[43:44], off offset:1496
	v_add_co_u32_e32 v45, vcc, s4, v45
	v_addc_co_u32_e32 v46, vcc, v47, v46, vcc
	global_load_dwordx2 v[45:46], v[45:46], off offset:1496
	v_add_u32_e32 v47, 0x898, v49
	global_load_dwordx2 v[47:48], v47, s[4:5] offset:1496
	v_add_u32_e32 v49, 0xa50, v49
	ds_read2_b32 v[52:53], v73 offset1:55
	ds_read2_b32 v[59:60], v63 offset0:74 offset1:129
	ds_read2_b32 v[54:55], v71 offset0:2 offset1:57
	global_load_dwordx2 v[49:50], v49, s[4:5] offset:1496
	v_mov_b32_e32 v56, s17
	v_addc_co_u32_e64 v64, vcc, 0, v56, s[6:7]
	ds_read2_b32 v[56:57], v63 offset0:184 offset1:239
	s_waitcnt lgkmcnt(2)
	v_lshrrev_b32_e32 v66, 16, v60
	s_waitcnt lgkmcnt(1)
	v_lshrrev_b32_e32 v70, 16, v54
	ds_read2_b32 v[68:69], v71 offset0:112 offset1:167
	v_lshrrev_b32_e32 v109, 16, v55
	s_waitcnt lgkmcnt(1)
	v_lshrrev_b32_e32 v102, 16, v56
	ds_read2_b32 v[100:101], v67 offset0:38 offset1:93
	;; [unrolled: 4-line block ×4, first 2 shown]
	v_lshrrev_b32_e32 v116, 16, v101
	s_waitcnt lgkmcnt(1)
	v_lshrrev_b32_e32 v117, 16, v105
	ds_read_b32 v119, v73 offset:4400
	v_lshrrev_b32_e32 v121, 16, v106
	s_waitcnt lgkmcnt(1)
	v_lshrrev_b32_e32 v120, 16, v107
	v_lshrrev_b32_e32 v123, 16, v108
	;; [unrolled: 1-line block ×3, first 2 shown]
	s_waitcnt lgkmcnt(0)
	v_lshrrev_b32_e32 v124, 16, v119
	s_movk_i32 s4, 0x3aee
	s_mov_b32 s5, 0xbaee
	ds_read2_b32 v[61:62], v73 offset0:110 offset1:165
	v_lshrrev_b32_e32 v72, 16, v53
	ds_read2_b32 v[103:104], v65 offset0:92 offset1:147
	v_lshrrev_b32_e32 v122, 16, v59
	s_waitcnt lgkmcnt(1)
	v_lshrrev_b32_e32 v110, 16, v61
	v_lshrrev_b32_e32 v113, 16, v62
	s_waitcnt lgkmcnt(0)
	v_lshrrev_b32_e32 v115, 16, v103
	v_lshrrev_b32_e32 v118, 16, v104
	s_waitcnt vmcnt(6)
	v_mul_f16_sdwa v125, v66, v37 dst_sel:DWORD dst_unused:UNUSED_PAD src0_sel:DWORD src1_sel:WORD_1
	v_fma_f16 v125, v60, v37, -v125
	v_mul_f16_sdwa v60, v60, v37 dst_sel:DWORD dst_unused:UNUSED_PAD src0_sel:DWORD src1_sel:WORD_1
	v_fma_f16 v60, v66, v37, v60
	v_mul_f16_sdwa v66, v70, v38 dst_sel:DWORD dst_unused:UNUSED_PAD src0_sel:DWORD src1_sel:WORD_1
	v_fma_f16 v66, v54, v38, -v66
	v_mul_f16_sdwa v54, v54, v38 dst_sel:DWORD dst_unused:UNUSED_PAD src0_sel:DWORD src1_sel:WORD_1
	v_fma_f16 v54, v70, v38, v54
	s_waitcnt vmcnt(5)
	v_mul_f16_sdwa v70, v102, v39 dst_sel:DWORD dst_unused:UNUSED_PAD src0_sel:DWORD src1_sel:WORD_1
	v_fma_f16 v70, v56, v39, -v70
	v_mul_f16_sdwa v56, v56, v39 dst_sel:DWORD dst_unused:UNUSED_PAD src0_sel:DWORD src1_sel:WORD_1
	v_fma_f16 v56, v102, v39, v56
	v_mul_f16_sdwa v102, v109, v40 dst_sel:DWORD dst_unused:UNUSED_PAD src0_sel:DWORD src1_sel:WORD_1
	v_fma_f16 v102, v55, v40, -v102
	v_mul_f16_sdwa v55, v55, v40 dst_sel:DWORD dst_unused:UNUSED_PAD src0_sel:DWORD src1_sel:WORD_1
	v_fma_f16 v55, v109, v40, v55
	;; [unrolled: 9-line block ×7, first 2 shown]
	v_add_f16_e32 v51, v52, v125
	v_add_f16_e32 v124, v51, v66
	v_add_f16_e32 v51, v125, v66
	v_fma_f16 v51, v51, -0.5, v52
	v_sub_f16_e32 v52, v60, v54
	v_fma_f16 v128, v52, s4, v51
	v_fma_f16 v129, v52, s5, v51
	v_add_f16_e32 v51, v58, v60
	v_add_f16_e32 v130, v51, v54
	v_add_f16_e32 v51, v60, v54
	v_fma_f16 v51, v51, -0.5, v58
	v_sub_f16_e32 v52, v125, v66
	v_fma_f16 v66, v52, s5, v51
	v_fma_f16 v125, v52, s4, v51
	;; [unrolled: 7-line block ×8, first 2 shown]
	v_add_f16_e32 v53, v126, v127
	v_fma_f16 v54, v53, -0.5, v103
	v_sub_f16_e32 v55, v116, v105
	v_fma_f16 v53, v55, s4, v54
	v_fma_f16 v54, v55, s5, v54
	v_add_f16_e32 v55, v115, v116
	v_add_f16_e32 v101, v55, v105
	;; [unrolled: 1-line block ×3, first 2 shown]
	v_fma_f16 v55, v55, -0.5, v115
	v_sub_f16_e32 v56, v126, v127
	v_add_f16_e32 v52, v103, v126
	v_fma_f16 v102, v56, s5, v55
	v_fma_f16 v103, v56, s4, v55
	v_add_f16_e32 v56, v117, v120
	v_fma_f16 v57, v56, -0.5, v104
	v_sub_f16_e32 v58, v107, v106
	v_fma_f16 v56, v58, s4, v57
	v_fma_f16 v57, v58, s5, v57
	v_add_f16_e32 v58, v118, v107
	v_add_f16_e32 v55, v104, v117
	;; [unrolled: 1-line block ×4, first 2 shown]
	v_fma_f16 v58, v58, -0.5, v118
	v_sub_f16_e32 v60, v117, v120
	v_pack_b32_f16 v66, v128, v66
	v_pack_b32_f16 v70, v132, v70
	v_fma_f16 v105, v60, s5, v58
	v_fma_f16 v106, v60, s4, v58
	v_add_f16_e32 v60, v121, v123
	v_pack_b32_f16 v113, v129, v125
	ds_write2_b32 v63, v66, v70 offset0:129 offset1:184
	v_pack_b32_f16 v66, v133, v72
	v_fma_f16 v60, v60, -0.5, v59
	v_sub_f16_e32 v107, v108, v119
	ds_write2_b32 v71, v113, v66 offset0:2 offset1:57
	v_pack_b32_f16 v66, v135, v137
	v_pack_b32_f16 v70, v111, v138
	v_add_f16_e32 v58, v59, v121
	v_fma_f16 v59, v107, s4, v60
	v_fma_f16 v60, v107, s5, v60
	v_add_f16_e32 v107, v122, v108
	v_add_f16_e32 v108, v108, v119
	v_pack_b32_f16 v61, v61, v68
	ds_write2_b32 v73, v66, v70 offset0:110 offset1:165
	v_pack_b32_f16 v62, v62, v69
	v_add_u32_e32 v66, 0x600, v73
	v_fma_f16 v109, v108, -0.5, v122
	v_sub_f16_e32 v112, v121, v123
	v_pack_b32_f16 v68, v136, v110
	ds_write2_b32 v66, v61, v62 offset0:111 offset1:166
	v_pack_b32_f16 v61, v51, v100
	v_add_f16_e32 v52, v52, v127
	v_add_f16_e32 v55, v55, v120
	v_fma_f16 v108, v112, s5, v109
	v_fma_f16 v109, v112, s4, v109
	v_pack_b32_f16 v112, v124, v130
	v_pack_b32_f16 v114, v131, v134
	ds_write2_b32 v71, v68, v61 offset0:112 offset1:167
	v_pack_b32_f16 v68, v54, v103
	ds_write2_b32 v73, v112, v114 offset1:55
	v_pack_b32_f16 v61, v52, v101
	ds_write_b32 v73, v68 offset:3960
	v_pack_b32_f16 v68, v55, v104
	v_add_f16_e32 v58, v58, v123
	v_add_f16_e32 v107, v107, v119
	v_pack_b32_f16 v62, v53, v102
	ds_write2_b32 v65, v61, v68 offset0:92 offset1:147
	v_pack_b32_f16 v61, v56, v105
	ds_write2_b32 v67, v62, v61 offset0:93 offset1:148
	v_pack_b32_f16 v62, v58, v107
	ds_write_b32 v73, v62 offset:1320
	v_pack_b32_f16 v62, v59, v108
	v_pack_b32_f16 v61, v57, v106
	ds_write_b32 v73, v62 offset:2860
	v_pack_b32_f16 v62, v60, v109
	s_movk_i32 s4, 0x1000
	v_add_u32_e32 v68, 0x1000, v73
	ds_write2_b32 v68, v61, v62 offset0:21 offset1:76
	v_add_co_u32_e32 v61, vcc, s4, v28
	v_addc_co_u32_e32 v62, vcc, 0, v64, vcc
	s_waitcnt lgkmcnt(0)
	; wave barrier
	s_waitcnt lgkmcnt(0)
	global_load_dword v70, v[61:62], off offset:524
	s_movk_i32 s4, 0x120c
	v_add_co_u32_e32 v61, vcc, s4, v28
	v_addc_co_u32_e32 v62, vcc, 0, v64, vcc
	global_load_dword v72, v[61:62], off offset:420
	global_load_dword v110, v[61:62], off offset:840
	;; [unrolled: 1-line block ×9, first 2 shown]
	v_add_co_u32_e32 v68, vcc, 0x2000, v28
	v_addc_co_u32_e32 v69, vcc, 0, v64, vcc
	global_load_dword v64, v[68:69], off offset:628
	ds_read2_b32 v[68:69], v73 offset1:105
	s_waitcnt lgkmcnt(0)
	v_lshrrev_b32_e32 v111, 16, v68
	s_waitcnt vmcnt(10)
	v_mul_f16_sdwa v119, v111, v70 dst_sel:DWORD dst_unused:UNUSED_PAD src0_sel:DWORD src1_sel:WORD_1
	v_fma_f16 v119, v68, v70, -v119
	v_mul_f16_sdwa v68, v68, v70 dst_sel:DWORD dst_unused:UNUSED_PAD src0_sel:DWORD src1_sel:WORD_1
	v_fma_f16 v68, v111, v70, v68
	v_lshrrev_b32_e32 v70, 16, v69
	s_waitcnt vmcnt(9)
	v_mul_f16_sdwa v111, v70, v72 dst_sel:DWORD dst_unused:UNUSED_PAD src0_sel:DWORD src1_sel:WORD_1
	v_fma_f16 v111, v69, v72, -v111
	v_mul_f16_sdwa v69, v69, v72 dst_sel:DWORD dst_unused:UNUSED_PAD src0_sel:DWORD src1_sel:WORD_1
	v_fma_f16 v69, v70, v72, v69
	v_pack_b32_f16 v68, v119, v68
	v_pack_b32_f16 v69, v111, v69
	ds_write2_b32 v73, v68, v69 offset1:105
	ds_read2_b32 v[68:69], v65 offset0:82 offset1:187
	s_waitcnt lgkmcnt(0)
	v_lshrrev_b32_e32 v70, 16, v68
	s_waitcnt vmcnt(8)
	v_mul_f16_sdwa v72, v70, v110 dst_sel:DWORD dst_unused:UNUSED_PAD src0_sel:DWORD src1_sel:WORD_1
	v_fma_f16 v72, v68, v110, -v72
	v_mul_f16_sdwa v68, v68, v110 dst_sel:DWORD dst_unused:UNUSED_PAD src0_sel:DWORD src1_sel:WORD_1
	v_fma_f16 v68, v70, v110, v68
	v_lshrrev_b32_e32 v70, 16, v69
	ds_read2_b32 v[110:111], v66 offset0:36 offset1:141
	v_pack_b32_f16 v68, v72, v68
	s_waitcnt vmcnt(7)
	v_mul_f16_sdwa v72, v70, v112 dst_sel:DWORD dst_unused:UNUSED_PAD src0_sel:DWORD src1_sel:WORD_1
	v_fma_f16 v72, v69, v112, -v72
	v_mul_f16_sdwa v69, v69, v112 dst_sel:DWORD dst_unused:UNUSED_PAD src0_sel:DWORD src1_sel:WORD_1
	v_fma_f16 v69, v70, v112, v69
	v_pack_b32_f16 v69, v72, v69
	ds_write2_b32 v65, v68, v69 offset0:82 offset1:187
	s_waitcnt lgkmcnt(1)
	v_lshrrev_b32_e32 v68, 16, v110
	s_waitcnt vmcnt(6)
	v_mul_f16_sdwa v69, v68, v113 dst_sel:DWORD dst_unused:UNUSED_PAD src0_sel:DWORD src1_sel:WORD_1
	v_mul_f16_sdwa v70, v110, v113 dst_sel:DWORD dst_unused:UNUSED_PAD src0_sel:DWORD src1_sel:WORD_1
	v_fma_f16 v69, v110, v113, -v69
	v_fma_f16 v68, v68, v113, v70
	v_lshrrev_b32_e32 v72, 16, v111
	v_pack_b32_f16 v70, v69, v68
	s_waitcnt vmcnt(5)
	v_mul_f16_sdwa v68, v72, v114 dst_sel:DWORD dst_unused:UNUSED_PAD src0_sel:DWORD src1_sel:WORD_1
	v_fma_f16 v110, v111, v114, -v68
	ds_read2_b32 v[68:69], v67 offset0:118 offset1:223
	v_mul_f16_sdwa v111, v111, v114 dst_sel:DWORD dst_unused:UNUSED_PAD src0_sel:DWORD src1_sel:WORD_1
	v_fma_f16 v72, v72, v114, v111
	v_pack_b32_f16 v72, v110, v72
	ds_write2_b32 v66, v70, v72 offset0:36 offset1:141
	s_waitcnt lgkmcnt(1)
	v_lshrrev_b32_e32 v70, 16, v68
	s_waitcnt vmcnt(4)
	v_mul_f16_sdwa v72, v70, v115 dst_sel:DWORD dst_unused:UNUSED_PAD src0_sel:DWORD src1_sel:WORD_1
	v_fma_f16 v72, v68, v115, -v72
	v_mul_f16_sdwa v68, v68, v115 dst_sel:DWORD dst_unused:UNUSED_PAD src0_sel:DWORD src1_sel:WORD_1
	v_fma_f16 v68, v70, v115, v68
	v_lshrrev_b32_e32 v70, 16, v69
	ds_read2_b32 v[110:111], v71 offset0:72 offset1:177
	v_pack_b32_f16 v68, v72, v68
	s_waitcnt vmcnt(3)
	v_mul_f16_sdwa v72, v70, v116 dst_sel:DWORD dst_unused:UNUSED_PAD src0_sel:DWORD src1_sel:WORD_1
	v_fma_f16 v72, v69, v116, -v72
	v_mul_f16_sdwa v69, v69, v116 dst_sel:DWORD dst_unused:UNUSED_PAD src0_sel:DWORD src1_sel:WORD_1
	v_fma_f16 v69, v70, v116, v69
	v_pack_b32_f16 v69, v72, v69
	ds_write2_b32 v67, v68, v69 offset0:118 offset1:223
	s_waitcnt lgkmcnt(1)
	v_lshrrev_b32_e32 v68, 16, v110
	s_waitcnt vmcnt(2)
	v_mul_f16_sdwa v69, v68, v117 dst_sel:DWORD dst_unused:UNUSED_PAD src0_sel:DWORD src1_sel:WORD_1
	v_mul_f16_sdwa v70, v110, v117 dst_sel:DWORD dst_unused:UNUSED_PAD src0_sel:DWORD src1_sel:WORD_1
	v_fma_f16 v69, v110, v117, -v69
	v_fma_f16 v68, v68, v117, v70
	ds_read_b32 v72, v73 offset:4200
	v_pack_b32_f16 v68, v69, v68
	v_lshrrev_b32_e32 v69, 16, v111
	s_waitcnt vmcnt(1)
	v_mul_f16_sdwa v70, v69, v118 dst_sel:DWORD dst_unused:UNUSED_PAD src0_sel:DWORD src1_sel:WORD_1
	v_mul_f16_sdwa v110, v111, v118 dst_sel:DWORD dst_unused:UNUSED_PAD src0_sel:DWORD src1_sel:WORD_1
	v_fma_f16 v70, v111, v118, -v70
	v_fma_f16 v69, v69, v118, v110
	v_pack_b32_f16 v69, v70, v69
	ds_write2_b32 v71, v68, v69 offset0:72 offset1:177
	s_waitcnt lgkmcnt(1)
	v_lshrrev_b32_e32 v68, 16, v72
	s_waitcnt vmcnt(0)
	v_mul_f16_sdwa v69, v68, v64 dst_sel:DWORD dst_unused:UNUSED_PAD src0_sel:DWORD src1_sel:WORD_1
	v_mul_f16_sdwa v70, v72, v64 dst_sel:DWORD dst_unused:UNUSED_PAD src0_sel:DWORD src1_sel:WORD_1
	v_fma_f16 v69, v72, v64, -v69
	v_fma_f16 v64, v68, v64, v70
	v_pack_b32_f16 v64, v69, v64
	ds_write_b32 v73, v64 offset:4200
	s_and_saveexec_b64 s[4:5], s[0:1]
	s_cbranch_execz .LBB0_13
; %bb.12:
	global_load_dword v64, v[61:62], off offset:220
	global_load_dword v68, v[61:62], off offset:640
	;; [unrolled: 1-line block ×10, first 2 shown]
	v_add_co_u32_e32 v61, vcc, 0x1000, v61
	v_addc_co_u32_e32 v62, vcc, 0, v62, vcc
	global_load_dword v120, v[61:62], off offset:324
	ds_read2_b32 v[61:62], v73 offset0:55 offset1:160
	v_add_u32_e32 v121, 0xa00, v73
	s_waitcnt lgkmcnt(0)
	v_lshrrev_b32_e32 v69, 16, v61
	v_lshrrev_b32_e32 v110, 16, v62
	s_waitcnt vmcnt(10)
	v_mul_f16_sdwa v111, v69, v64 dst_sel:DWORD dst_unused:UNUSED_PAD src0_sel:DWORD src1_sel:WORD_1
	v_mul_f16_sdwa v112, v61, v64 dst_sel:DWORD dst_unused:UNUSED_PAD src0_sel:DWORD src1_sel:WORD_1
	s_waitcnt vmcnt(9)
	v_mul_f16_sdwa v113, v110, v68 dst_sel:DWORD dst_unused:UNUSED_PAD src0_sel:DWORD src1_sel:WORD_1
	v_mul_f16_sdwa v122, v62, v68 dst_sel:DWORD dst_unused:UNUSED_PAD src0_sel:DWORD src1_sel:WORD_1
	v_fma_f16 v61, v61, v64, -v111
	v_fma_f16 v64, v69, v64, v112
	v_fma_f16 v62, v62, v68, -v113
	v_fma_f16 v68, v110, v68, v122
	v_pack_b32_f16 v61, v61, v64
	v_pack_b32_f16 v62, v62, v68
	ds_write2_b32 v73, v61, v62 offset0:55 offset1:160
	ds_read2_b32 v[61:62], v63 offset0:9 offset1:114
	ds_read2_b32 v[68:69], v66 offset0:91 offset1:196
	;; [unrolled: 1-line block ×4, first 2 shown]
	ds_read_b32 v64, v73 offset:4420
	s_waitcnt lgkmcnt(4)
	v_lshrrev_b32_e32 v122, 16, v61
	s_waitcnt vmcnt(8)
	v_mul_f16_sdwa v123, v61, v70 dst_sel:DWORD dst_unused:UNUSED_PAD src0_sel:DWORD src1_sel:WORD_1
	v_lshrrev_b32_e32 v124, 16, v62
	s_waitcnt vmcnt(7)
	v_mul_f16_sdwa v125, v62, v72 dst_sel:DWORD dst_unused:UNUSED_PAD src0_sel:DWORD src1_sel:WORD_1
	s_waitcnt lgkmcnt(3)
	v_lshrrev_b32_e32 v126, 16, v68
	s_waitcnt vmcnt(6)
	v_mul_f16_sdwa v127, v68, v114 dst_sel:DWORD dst_unused:UNUSED_PAD src0_sel:DWORD src1_sel:WORD_1
	v_lshrrev_b32_e32 v128, 16, v69
	s_waitcnt vmcnt(5)
	v_mul_f16_sdwa v129, v69, v115 dst_sel:DWORD dst_unused:UNUSED_PAD src0_sel:DWORD src1_sel:WORD_1
	;; [unrolled: 7-line block ×4, first 2 shown]
	s_waitcnt lgkmcnt(0)
	v_lshrrev_b32_e32 v138, 16, v64
	v_mul_f16_sdwa v140, v122, v70 dst_sel:DWORD dst_unused:UNUSED_PAD src0_sel:DWORD src1_sel:WORD_1
	v_fma_f16 v122, v122, v70, v123
	v_mul_f16_sdwa v123, v124, v72 dst_sel:DWORD dst_unused:UNUSED_PAD src0_sel:DWORD src1_sel:WORD_1
	s_waitcnt vmcnt(0)
	v_mul_f16_sdwa v139, v64, v120 dst_sel:DWORD dst_unused:UNUSED_PAD src0_sel:DWORD src1_sel:WORD_1
	v_fma_f16 v124, v124, v72, v125
	v_mul_f16_sdwa v125, v126, v114 dst_sel:DWORD dst_unused:UNUSED_PAD src0_sel:DWORD src1_sel:WORD_1
	v_fma_f16 v126, v126, v114, v127
	v_mul_f16_sdwa v127, v128, v115 dst_sel:DWORD dst_unused:UNUSED_PAD src0_sel:DWORD src1_sel:WORD_1
	v_fma_f16 v128, v128, v115, v129
	v_mul_f16_sdwa v129, v130, v116 dst_sel:DWORD dst_unused:UNUSED_PAD src0_sel:DWORD src1_sel:WORD_1
	v_fma_f16 v130, v130, v116, v131
	v_mul_f16_sdwa v131, v132, v117 dst_sel:DWORD dst_unused:UNUSED_PAD src0_sel:DWORD src1_sel:WORD_1
	v_fma_f16 v132, v132, v117, v133
	v_mul_f16_sdwa v133, v134, v118 dst_sel:DWORD dst_unused:UNUSED_PAD src0_sel:DWORD src1_sel:WORD_1
	v_fma_f16 v134, v134, v118, v135
	v_mul_f16_sdwa v135, v136, v119 dst_sel:DWORD dst_unused:UNUSED_PAD src0_sel:DWORD src1_sel:WORD_1
	v_fma_f16 v136, v136, v119, v137
	v_mul_f16_sdwa v137, v138, v120 dst_sel:DWORD dst_unused:UNUSED_PAD src0_sel:DWORD src1_sel:WORD_1
	v_fma_f16 v61, v61, v70, -v140
	v_fma_f16 v62, v62, v72, -v123
	v_fma_f16 v138, v138, v120, v139
	v_fma_f16 v68, v68, v114, -v125
	v_fma_f16 v69, v69, v115, -v127
	;; [unrolled: 1-line block ×7, first 2 shown]
	v_pack_b32_f16 v61, v61, v122
	v_pack_b32_f16 v62, v62, v124
	;; [unrolled: 1-line block ×9, first 2 shown]
	ds_write2_b32 v63, v61, v62 offset0:9 offset1:114
	ds_write2_b32 v66, v68, v69 offset0:91 offset1:196
	;; [unrolled: 1-line block ×4, first 2 shown]
	ds_write_b32 v73, v64 offset:4420
.LBB0_13:
	s_or_b64 exec, exec, s[4:5]
	s_waitcnt lgkmcnt(0)
	; wave barrier
	s_waitcnt lgkmcnt(0)
	ds_read2_b32 v[63:64], v73 offset1:105
	ds_read2_b32 v[69:70], v65 offset0:82 offset1:187
	ds_read2_b32 v[65:66], v66 offset0:36 offset1:141
	;; [unrolled: 1-line block ×4, first 2 shown]
	ds_read_b32 v152, v73 offset:4200
	s_and_saveexec_b64 s[4:5], s[0:1]
	s_cbranch_execz .LBB0_15
; %bb.14:
	v_add_u32_e32 v53, 0x400, v73
	v_add_u32_e32 v55, 0x600, v73
	;; [unrolled: 1-line block ×4, first 2 shown]
	ds_read2_b32 v[51:52], v73 offset0:55 offset1:160
	ds_read2_b32 v[53:54], v53 offset0:9 offset1:114
	;; [unrolled: 1-line block ×5, first 2 shown]
	ds_read_b32 v98, v73 offset:4420
	s_waitcnt lgkmcnt(5)
	v_lshrrev_b32_e32 v100, 16, v51
	v_lshrrev_b32_e32 v101, 16, v52
	s_waitcnt lgkmcnt(4)
	v_lshrrev_b32_e32 v102, 16, v53
	v_lshrrev_b32_e32 v103, 16, v54
	;; [unrolled: 3-line block ×5, first 2 shown]
	s_waitcnt lgkmcnt(0)
	v_lshrrev_b32_e32 v99, 16, v98
.LBB0_15:
	s_or_b64 exec, exec, s[4:5]
	v_sub_f16_e32 v129, v101, v99
	v_add_f16_e32 v112, v98, v52
	v_add_f16_e32 v133, v99, v101
	s_movk_i32 s6, 0x3abb
	v_mul_f16_e32 v120, 0xb853, v129
	v_sub_f16_e32 v135, v102, v109
	v_sub_f16_e32 v113, v52, v98
	s_mov_b32 s12, 0xb853
	v_mul_f16_e32 v122, 0x3abb, v133
	v_fma_f16 v61, v112, s6, -v120
	s_movk_i32 s7, 0x36a6
	v_add_f16_e32 v114, v60, v53
	v_add_f16_e32 v139, v109, v102
	v_mul_f16_e32 v124, 0xbb47, v135
	v_add_f16_e32 v61, v51, v61
	v_fma_f16 v62, v113, s12, v122
	s_mov_b32 s24, 0xbb47
	v_mul_f16_e32 v126, 0xbb47, v129
	v_sub_f16_e32 v115, v53, v60
	v_mul_f16_e32 v125, 0x36a6, v139
	v_fma_f16 v116, v114, s7, -v124
	v_add_f16_e32 v62, v100, v62
	v_mul_f16_e32 v128, 0x36a6, v133
	v_fma_f16 v110, v112, s7, -v126
	v_add_f16_e32 v61, v116, v61
	v_fma_f16 v116, v115, s24, v125
	s_mov_b32 s13, 0xb93d
	v_mul_f16_e32 v130, 0xba0c, v135
	v_add_f16_e32 v110, v51, v110
	v_fma_f16 v111, v113, s24, v128
	v_add_f16_e32 v62, v116, v62
	s_mov_b32 s16, 0xba0c
	v_mul_f16_e32 v134, 0xb93d, v139
	v_fma_f16 v116, v114, s13, -v130
	v_add_f16_e32 v111, v100, v111
	v_add_f16_e32 v110, v116, v110
	v_fma_f16 v116, v115, s16, v134
	v_sub_f16_e32 v141, v103, v108
	v_add_f16_e32 v111, v116, v111
	v_add_f16_e32 v116, v59, v54
	;; [unrolled: 1-line block ×3, first 2 shown]
	s_mov_b32 s17, 0xb08e
	v_mul_f16_e32 v127, 0xbbeb, v141
	v_sub_f16_e32 v117, v54, v59
	s_mov_b32 s19, 0xbbeb
	v_mul_f16_e32 v131, 0xb08e, v144
	v_fma_f16 v118, v116, s17, -v127
	v_add_f16_e32 v61, v118, v61
	v_fma_f16 v118, v117, s19, v131
	s_mov_b32 s18, 0xbbad
	v_mul_f16_e32 v137, 0x3482, v141
	v_add_f16_e32 v62, v118, v62
	s_movk_i32 s20, 0x3482
	v_mul_f16_e32 v140, 0xbbad, v144
	v_fma_f16 v118, v116, s18, -v137
	v_add_f16_e32 v110, v118, v110
	v_fma_f16 v118, v117, s20, v140
	v_sub_f16_e32 v146, v104, v107
	v_add_f16_e32 v111, v118, v111
	v_add_f16_e32 v118, v58, v55
	;; [unrolled: 1-line block ×3, first 2 shown]
	v_mul_f16_e32 v132, 0xba0c, v146
	v_sub_f16_e32 v119, v55, v58
	v_mul_f16_e32 v136, 0xb93d, v148
	v_fma_f16 v121, v118, s13, -v132
	s_waitcnt lgkmcnt(5)
	v_pk_add_f16 v153, v63, v64
	v_add_f16_e32 v61, v121, v61
	v_fma_f16 v121, v119, s16, v136
	v_mul_f16_e32 v142, 0x3beb, v146
	v_add_f16_e32 v147, v121, v62
	s_movk_i32 s25, 0x3beb
	v_mul_f16_e32 v145, 0xb08e, v148
	v_fma_f16 v62, v118, s17, -v142
	v_sub_f16_e32 v150, v105, v106
	s_waitcnt lgkmcnt(4)
	v_pk_add_f16 v153, v153, v69
	v_add_f16_e32 v110, v62, v110
	v_fma_f16 v62, v119, s25, v145
	v_add_f16_e32 v121, v57, v56
	v_add_f16_e32 v151, v106, v105
	v_mul_f16_e32 v138, 0xb482, v150
	v_pk_add_f16 v153, v153, v70
	v_add_f16_e32 v154, v62, v111
	v_sub_f16_e32 v123, v56, v57
	s_mov_b32 s21, 0xb482
	v_mul_f16_e32 v143, 0xbbad, v151
	v_fma_f16 v62, v121, s18, -v138
	s_waitcnt lgkmcnt(3)
	v_pk_add_f16 v153, v153, v65
	v_add_f16_e32 v62, v62, v61
	v_fma_f16 v61, v123, s21, v143
	v_pk_add_f16 v153, v153, v66
	v_add_f16_e32 v111, v61, v147
	v_mul_f16_e32 v147, 0x3853, v150
	s_waitcnt lgkmcnt(2)
	v_pk_add_f16 v153, v153, v67
	s_movk_i32 s22, 0x3853
	v_mul_f16_e32 v149, 0x3abb, v151
	v_fma_f16 v61, v121, s6, -v147
	v_pk_add_f16 v153, v153, v68
	v_add_f16_e32 v61, v61, v110
	v_fma_f16 v110, v123, s22, v149
	s_waitcnt lgkmcnt(1)
	v_pk_add_f16 v153, v153, v71
	v_add_f16_e32 v110, v110, v154
	v_pk_add_f16 v153, v153, v72
	s_waitcnt lgkmcnt(0)
	v_pk_add_f16 v154, v152, v64
	v_pk_add_f16 v64, v64, v152 neg_lo:[0,1] neg_hi:[0,1]
	v_pk_add_f16 v153, v153, v152
	v_pk_mul_f16 v152, v64, s12 op_sel_hi:[1,0]
	v_pk_add_f16 v169, v72, v69
	v_pk_add_f16 v69, v69, v72 neg_lo:[0,1] neg_hi:[0,1]
	v_pk_fma_f16 v155, v154, s6, v152 op_sel:[0,0,1] op_sel_hi:[1,0,0]
	v_pk_fma_f16 v152, v154, s6, v152 op_sel:[0,0,1] op_sel_hi:[1,0,0] neg_lo:[0,0,1] neg_hi:[0,0,1]
	s_mov_b32 s4, 0xffff
	v_pk_mul_f16 v72, v69, s24 op_sel_hi:[1,0]
	v_bfi_b32 v156, s4, v155, v152
	v_pk_fma_f16 v170, v169, s7, v72 op_sel:[0,0,1] op_sel_hi:[1,0,0]
	v_pk_fma_f16 v72, v169, s7, v72 op_sel:[0,0,1] op_sel_hi:[1,0,0] neg_lo:[0,0,1] neg_hi:[0,0,1]
	v_pk_add_f16 v156, v63, v156
	v_mul_f16_sdwa v157, v64, s24 dst_sel:DWORD dst_unused:UNUSED_PAD src0_sel:WORD_1 src1_sel:DWORD
	v_bfi_b32 v171, s4, v170, v72
	v_fma_f16 v158, v154, s7, v157
	v_pk_add_f16 v156, v171, v156
	v_mul_f16_sdwa v171, v69, s16 dst_sel:DWORD dst_unused:UNUSED_PAD src0_sel:WORD_1 src1_sel:DWORD
	v_add_f16_e32 v158, v63, v158
	v_mul_f16_sdwa v159, v154, s7 dst_sel:DWORD dst_unused:UNUSED_PAD src0_sel:WORD_1 src1_sel:DWORD
	s_movk_i32 s23, 0x3b47
	v_fma_f16 v157, v154, s7, -v157
	v_fma_f16 v172, v169, s13, v171
	v_fma_f16 v160, v64, s23, v159
	v_add_f16_e32 v157, v63, v157
	v_fma_f16 v159, v64, s24, v159
	v_add_f16_e32 v158, v172, v158
	v_mul_f16_sdwa v172, v169, s13 dst_sel:DWORD dst_unused:UNUSED_PAD src0_sel:WORD_1 src1_sel:DWORD
	v_fma_f16 v171, v169, s13, -v171
	v_add_f16_sdwa v159, v63, v159 dst_sel:DWORD dst_unused:UNUSED_PAD src0_sel:WORD_1 src1_sel:DWORD
	v_mul_f16_sdwa v161, v64, s19 dst_sel:DWORD dst_unused:UNUSED_PAD src0_sel:WORD_1 src1_sel:DWORD
	v_add_f16_e32 v157, v171, v157
	v_fma_f16 v171, v69, s16, v172
	v_fma_f16 v162, v154, s17, v161
	s_movk_i32 s26, 0x3a0c
	v_add_f16_e32 v159, v171, v159
	v_mul_f16_sdwa v171, v69, s20 dst_sel:DWORD dst_unused:UNUSED_PAD src0_sel:WORD_1 src1_sel:DWORD
	v_add_f16_e32 v162, v63, v162
	v_mul_f16_sdwa v163, v154, s17 dst_sel:DWORD dst_unused:UNUSED_PAD src0_sel:WORD_1 src1_sel:DWORD
	v_fma_f16 v161, v154, s17, -v161
	v_fma_f16 v173, v69, s26, v172
	v_fma_f16 v172, v169, s18, v171
	;; [unrolled: 1-line block ×3, first 2 shown]
	v_add_f16_e32 v161, v63, v161
	v_fma_f16 v163, v64, s19, v163
	v_add_f16_e32 v162, v172, v162
	v_mul_f16_sdwa v172, v169, s18 dst_sel:DWORD dst_unused:UNUSED_PAD src0_sel:WORD_1 src1_sel:DWORD
	v_fma_f16 v171, v169, s18, -v171
	v_add_f16_sdwa v163, v63, v163 dst_sel:DWORD dst_unused:UNUSED_PAD src0_sel:WORD_1 src1_sel:DWORD
	v_mul_f16_sdwa v165, v64, s16 dst_sel:DWORD dst_unused:UNUSED_PAD src0_sel:WORD_1 src1_sel:DWORD
	v_add_f16_e32 v161, v171, v161
	v_fma_f16 v171, v69, s20, v172
	v_add_f16_sdwa v160, v63, v160 dst_sel:DWORD dst_unused:UNUSED_PAD src0_sel:WORD_1 src1_sel:DWORD
	v_fma_f16 v166, v154, s13, v165
	v_add_f16_e32 v163, v171, v163
	v_mul_f16_sdwa v171, v69, s25 dst_sel:DWORD dst_unused:UNUSED_PAD src0_sel:WORD_1 src1_sel:DWORD
	v_add_f16_e32 v166, v63, v166
	v_mul_f16_sdwa v167, v154, s13 dst_sel:DWORD dst_unused:UNUSED_PAD src0_sel:WORD_1 src1_sel:DWORD
	v_fma_f16 v165, v154, s13, -v165
	v_add_f16_e32 v160, v173, v160
	v_fma_f16 v173, v69, s21, v172
	v_fma_f16 v172, v169, s17, v171
	;; [unrolled: 1-line block ×3, first 2 shown]
	v_add_f16_e32 v165, v63, v165
	v_fma_f16 v167, v64, s16, v167
	v_add_f16_e32 v166, v172, v166
	v_mul_f16_sdwa v172, v169, s17 dst_sel:DWORD dst_unused:UNUSED_PAD src0_sel:WORD_1 src1_sel:DWORD
	v_fma_f16 v171, v169, s17, -v171
	v_add_f16_sdwa v167, v63, v167 dst_sel:DWORD dst_unused:UNUSED_PAD src0_sel:WORD_1 src1_sel:DWORD
	v_add_f16_e32 v165, v171, v165
	v_fma_f16 v171, v69, s25, v172
	v_add_f16_e32 v167, v171, v167
	v_pk_add_f16 v171, v71, v70
	v_pk_add_f16 v70, v70, v71 neg_lo:[0,1] neg_hi:[0,1]
	v_add_f16_sdwa v164, v63, v164 dst_sel:DWORD dst_unused:UNUSED_PAD src0_sel:WORD_1 src1_sel:DWORD
	v_pk_mul_f16 v71, v70, s19 op_sel_hi:[1,0]
	v_add_f16_sdwa v168, v63, v168 dst_sel:DWORD dst_unused:UNUSED_PAD src0_sel:WORD_1 src1_sel:DWORD
	v_add_f16_e32 v164, v173, v164
	v_fma_f16 v173, v69, s19, v172
	v_pk_fma_f16 v172, v171, s17, v71 op_sel:[0,0,1] op_sel_hi:[1,0,0]
	v_pk_fma_f16 v71, v171, s17, v71 op_sel:[0,0,1] op_sel_hi:[1,0,0] neg_lo:[0,0,1] neg_hi:[0,0,1]
	v_add_f16_e32 v168, v173, v168
	v_bfi_b32 v173, s4, v172, v71
	v_pk_add_f16 v156, v173, v156
	v_mul_f16_sdwa v173, v70, s20 dst_sel:DWORD dst_unused:UNUSED_PAD src0_sel:WORD_1 src1_sel:DWORD
	v_fma_f16 v174, v171, s18, v173
	v_add_f16_e32 v158, v174, v158
	v_mul_f16_sdwa v174, v171, s18 dst_sel:DWORD dst_unused:UNUSED_PAD src0_sel:WORD_1 src1_sel:DWORD
	v_fma_f16 v173, v171, s18, -v173
	v_add_f16_e32 v157, v173, v157
	v_fma_f16 v173, v70, s20, v174
	v_add_f16_e32 v159, v173, v159
	v_mul_f16_sdwa v173, v70, s23 dst_sel:DWORD dst_unused:UNUSED_PAD src0_sel:WORD_1 src1_sel:DWORD
	v_fma_f16 v175, v70, s21, v174
	v_fma_f16 v174, v171, s7, v173
	v_add_f16_e32 v162, v174, v162
	v_mul_f16_sdwa v174, v171, s7 dst_sel:DWORD dst_unused:UNUSED_PAD src0_sel:WORD_1 src1_sel:DWORD
	v_fma_f16 v173, v171, s7, -v173
	v_add_f16_e32 v161, v173, v161
	v_fma_f16 v173, v70, s23, v174
	v_add_f16_e32 v163, v173, v163
	v_mul_f16_sdwa v173, v70, s12 dst_sel:DWORD dst_unused:UNUSED_PAD src0_sel:WORD_1 src1_sel:DWORD
	v_add_f16_e32 v160, v175, v160
	v_fma_f16 v175, v70, s24, v174
	v_fma_f16 v174, v171, s6, v173
	v_add_f16_e32 v166, v174, v166
	v_mul_f16_sdwa v174, v171, s6 dst_sel:DWORD dst_unused:UNUSED_PAD src0_sel:WORD_1 src1_sel:DWORD
	v_fma_f16 v173, v171, s6, -v173
	v_add_f16_e32 v165, v173, v165
	v_fma_f16 v173, v70, s12, v174
	v_add_f16_e32 v167, v173, v167
	v_pk_add_f16 v173, v68, v65
	v_pk_add_f16 v65, v65, v68 neg_lo:[0,1] neg_hi:[0,1]
	v_pk_mul_f16 v68, v65, s16 op_sel_hi:[1,0]
	v_add_f16_e32 v164, v175, v164
	v_fma_f16 v175, v70, s22, v174
	v_pk_fma_f16 v174, v173, s13, v68 op_sel:[0,0,1] op_sel_hi:[1,0,0]
	v_pk_fma_f16 v68, v173, s13, v68 op_sel:[0,0,1] op_sel_hi:[1,0,0] neg_lo:[0,0,1] neg_hi:[0,0,1]
	v_add_f16_e32 v168, v175, v168
	v_bfi_b32 v175, s4, v174, v68
	v_pk_add_f16 v156, v175, v156
	v_mul_f16_sdwa v175, v65, s25 dst_sel:DWORD dst_unused:UNUSED_PAD src0_sel:WORD_1 src1_sel:DWORD
	v_fma_f16 v176, v173, s17, v175
	v_add_f16_e32 v158, v176, v158
	v_mul_f16_sdwa v176, v173, s17 dst_sel:DWORD dst_unused:UNUSED_PAD src0_sel:WORD_1 src1_sel:DWORD
	v_fma_f16 v175, v173, s17, -v175
	v_add_f16_e32 v157, v175, v157
	v_fma_f16 v175, v65, s25, v176
	v_add_f16_e32 v159, v175, v159
	v_mul_f16_sdwa v175, v65, s12 dst_sel:DWORD dst_unused:UNUSED_PAD src0_sel:WORD_1 src1_sel:DWORD
	v_fma_f16 v177, v65, s19, v176
	v_fma_f16 v176, v173, s6, v175
	v_add_f16_e32 v162, v176, v162
	v_mul_f16_sdwa v176, v173, s6 dst_sel:DWORD dst_unused:UNUSED_PAD src0_sel:WORD_1 src1_sel:DWORD
	v_fma_f16 v175, v173, s6, -v175
	v_add_f16_e32 v161, v175, v161
	v_fma_f16 v175, v65, s12, v176
	v_add_f16_e32 v163, v175, v163
	v_mul_f16_sdwa v175, v65, s21 dst_sel:DWORD dst_unused:UNUSED_PAD src0_sel:WORD_1 src1_sel:DWORD
	v_add_f16_e32 v160, v177, v160
	v_fma_f16 v177, v65, s22, v176
	v_fma_f16 v176, v173, s18, v175
	v_add_f16_e32 v166, v176, v166
	v_mul_f16_sdwa v176, v173, s18 dst_sel:DWORD dst_unused:UNUSED_PAD src0_sel:WORD_1 src1_sel:DWORD
	v_fma_f16 v175, v173, s18, -v175
	v_add_f16_e32 v165, v175, v165
	v_fma_f16 v175, v65, s21, v176
	v_add_f16_e32 v167, v175, v167
	v_pk_add_f16 v175, v67, v66
	v_pk_add_f16 v66, v66, v67 neg_lo:[0,1] neg_hi:[0,1]
	v_pk_mul_f16 v67, v66, s21 op_sel_hi:[1,0]
	v_add_f16_e32 v164, v177, v164
	v_fma_f16 v177, v65, s20, v176
	v_pk_fma_f16 v176, v175, s18, v67 op_sel:[0,0,1] op_sel_hi:[1,0,0]
	v_pk_fma_f16 v67, v175, s18, v67 op_sel:[0,0,1] op_sel_hi:[1,0,0] neg_lo:[0,0,1] neg_hi:[0,0,1]
	v_add_f16_e32 v168, v177, v168
	v_bfi_b32 v177, s4, v176, v67
	v_pk_add_f16 v156, v177, v156
	v_mul_f16_sdwa v177, v66, s22 dst_sel:DWORD dst_unused:UNUSED_PAD src0_sel:WORD_1 src1_sel:DWORD
	v_fma_f16 v178, v175, s6, v177
	v_add_f16_e32 v158, v178, v158
	v_mul_f16_sdwa v178, v175, s6 dst_sel:DWORD dst_unused:UNUSED_PAD src0_sel:WORD_1 src1_sel:DWORD
	v_fma_f16 v177, v175, s6, -v177
	v_add_f16_e32 v157, v177, v157
	v_fma_f16 v177, v66, s22, v178
	v_add_f16_e32 v159, v177, v159
	v_mul_f16_sdwa v177, v66, s16 dst_sel:DWORD dst_unused:UNUSED_PAD src0_sel:WORD_1 src1_sel:DWORD
	v_fma_f16 v179, v66, s12, v178
	v_fma_f16 v178, v175, s13, v177
	v_add_f16_e32 v162, v178, v162
	v_mul_f16_sdwa v178, v175, s13 dst_sel:DWORD dst_unused:UNUSED_PAD src0_sel:WORD_1 src1_sel:DWORD
	v_fma_f16 v177, v175, s13, -v177
	v_add_f16_e32 v161, v177, v161
	v_fma_f16 v177, v66, s16, v178
	v_add_f16_e32 v163, v177, v163
	v_mul_f16_sdwa v177, v66, s23 dst_sel:DWORD dst_unused:UNUSED_PAD src0_sel:WORD_1 src1_sel:DWORD
	v_add_f16_e32 v160, v179, v160
	v_fma_f16 v179, v66, s26, v178
	v_fma_f16 v178, v175, s7, v177
	v_add_f16_e32 v166, v178, v166
	v_mul_f16_sdwa v178, v175, s7 dst_sel:DWORD dst_unused:UNUSED_PAD src0_sel:WORD_1 src1_sel:DWORD
	v_add_f16_e32 v164, v179, v164
	v_fma_f16 v179, v66, s24, v178
	s_waitcnt lgkmcnt(0)
	; wave barrier
	v_add_f16_e32 v168, v179, v168
	ds_write2_b32 v86, v153, v156 offset1:1
	v_pack_b32_f16 v153, v162, v164
	v_pack_b32_f16 v156, v158, v160
	ds_write2_b32 v86, v156, v153 offset0:2 offset1:3
	v_pack_b32_f16 v153, v166, v168
	ds_write_b32 v86, v153 offset:16
	v_pk_mul_f16 v153, v154, s18 op_sel_hi:[1,0]
	v_pk_fma_f16 v154, v64, s21, v153 op_sel:[0,0,1] op_sel_hi:[1,0,0]
	v_pk_fma_f16 v64, v64, s21, v153 op_sel:[0,0,1] op_sel_hi:[1,0,0] neg_lo:[1,0,0] neg_hi:[1,0,0]
	v_alignbit_b32 v153, s0, v63, 16
	v_alignbit_b32 v156, s0, v154, 16
	v_pk_add_f16 v153, v153, v154
	v_pk_mul_f16 v154, v169, s6 op_sel_hi:[1,0]
	v_pk_add_f16 v64, v63, v64 op_sel:[1,0] op_sel_hi:[0,1]
	v_pk_fma_f16 v158, v69, s22, v154 op_sel:[0,0,1] op_sel_hi:[1,0,0]
	v_pk_fma_f16 v69, v69, s22, v154 op_sel:[0,0,1] op_sel_hi:[1,0,0] neg_lo:[1,0,0] neg_hi:[1,0,0]
	v_pk_add_f16 v64, v69, v64
	v_pk_add_f16 v69, v158, v153
	v_pk_mul_f16 v153, v171, s13 op_sel_hi:[1,0]
	v_pk_fma_f16 v154, v70, s16, v153 op_sel:[0,0,1] op_sel_hi:[1,0,0]
	v_pk_fma_f16 v70, v70, s16, v153 op_sel:[0,0,1] op_sel_hi:[1,0,0] neg_lo:[1,0,0] neg_hi:[1,0,0]
	v_pk_add_f16 v64, v70, v64
	v_pk_mul_f16 v70, v173, s7 op_sel_hi:[1,0]
	v_pk_add_f16 v156, v63, v156
	v_alignbit_b32 v160, s0, v158, 16
	v_pk_add_f16 v69, v154, v69
	v_pk_fma_f16 v153, v65, s23, v70 op_sel:[0,0,1] op_sel_hi:[1,0,0]
	v_pk_fma_f16 v65, v65, s23, v70 op_sel:[0,0,1] op_sel_hi:[1,0,0] neg_lo:[1,0,0] neg_hi:[1,0,0]
	v_pk_add_f16 v156, v160, v156
	v_alignbit_b32 v158, s0, v154, 16
	v_pk_add_f16 v64, v65, v64
	v_pk_add_f16 v65, v153, v69
	v_pk_mul_f16 v69, v175, s17 op_sel_hi:[1,0]
	v_fma_f16 v177, v175, s7, -v177
	v_pk_add_f16 v156, v158, v156
	v_alignbit_b32 v154, s0, v153, 16
	v_pk_fma_f16 v70, v66, s19, v69 op_sel:[0,0,1] op_sel_hi:[1,0,0]
	v_add_f16_e32 v165, v177, v165
	v_fma_f16 v177, v66, s23, v178
	v_pk_add_f16 v154, v154, v156
	v_alignbit_b32 v153, s0, v70, 16
	v_pk_fma_f16 v66, v66, s19, v69 op_sel:[0,0,1] op_sel_hi:[1,0,0] neg_lo:[1,0,0] neg_hi:[1,0,0]
	v_pk_add_f16 v153, v153, v154
	v_pk_add_f16 v64, v66, v64
	;; [unrolled: 1-line block ×3, first 2 shown]
	v_add_f16_e32 v167, v177, v167
	v_alignbit_b32 v65, v65, v64, 16
	v_pack_b32_f16 v64, v153, v64
	ds_write2_b32 v86, v64, v65 offset0:5 offset1:6
	v_pack_b32_f16 v64, v161, v163
	v_pack_b32_f16 v65, v165, v167
	ds_write2_b32 v86, v65, v64 offset0:7 offset1:8
	v_bfi_b32 v64, s4, v152, v155
	v_pk_add_f16 v63, v63, v64
	v_bfi_b32 v64, s4, v72, v170
	v_pk_add_f16 v63, v64, v63
	;; [unrolled: 2-line block ×5, first 2 shown]
	v_pack_b32_f16 v64, v157, v159
	ds_write2_b32 v86, v64, v63 offset0:9 offset1:10
	s_and_saveexec_b64 s[4:5], s[0:1]
	s_cbranch_execz .LBB0_17
; %bb.16:
	v_mul_f16_e32 v161, 0xba0c, v113
	v_fma_f16 v162, v133, s13, v161
	v_mul_f16_e32 v163, 0x3beb, v115
	v_add_f16_e32 v162, v100, v162
	v_fma_f16 v164, v139, s17, v163
	v_add_f16_e32 v162, v164, v162
	v_mul_f16_e32 v164, 0xb853, v117
	v_fma_f16 v165, v144, s6, v164
	v_add_f16_e32 v162, v165, v162
	v_mul_f16_e32 v165, 0xb482, v119
	;; [unrolled: 3-line block ×4, first 2 shown]
	v_fma_f16 v168, v112, s13, -v167
	v_mul_f16_e32 v169, 0x3beb, v135
	v_add_f16_e32 v168, v51, v168
	v_fma_f16 v170, v114, s17, -v169
	v_add_f16_e32 v168, v170, v168
	v_mul_f16_e32 v170, 0xb853, v141
	v_fma_f16 v171, v116, s6, -v170
	v_add_f16_e32 v168, v171, v168
	v_mul_f16_e32 v171, 0xb482, v146
	;; [unrolled: 3-line block ×4, first 2 shown]
	v_fma_f16 v174, v113, s20, v173
	v_mul_f16_e32 v175, 0x3abb, v139
	v_add_f16_e32 v174, v100, v174
	v_fma_f16 v176, v115, s12, v175
	v_add_f16_e32 v174, v176, v174
	v_mul_f16_e32 v176, 0xb93d, v144
	v_fma_f16 v177, v117, s26, v176
	v_add_f16_e32 v174, v177, v174
	v_mul_f16_e32 v177, 0x36a6, v148
	v_fma_f16 v178, v119, s24, v177
	v_add_f16_e32 v52, v52, v51
	v_add_f16_e32 v174, v178, v174
	v_mul_f16_e32 v178, 0xb08e, v151
	v_add_f16_e32 v52, v53, v52
	v_fma_f16 v179, v123, s25, v178
	v_fma_f16 v161, v133, s13, -v161
	v_add_f16_e32 v52, v54, v52
	v_fma_f16 v54, v113, s21, v173
	v_add_f16_e32 v174, v179, v174
	v_mul_f16_e32 v179, 0xb482, v129
	v_add_f16_e32 v161, v100, v161
	v_fma_f16 v163, v139, s17, -v163
	v_add_f16_e32 v52, v55, v52
	v_add_f16_e32 v54, v100, v54
	v_fma_f16 v55, v115, s22, v175
	v_fma_f16 v180, v112, s18, v179
	v_mul_f16_e32 v181, 0x3853, v135
	v_add_f16_e32 v161, v163, v161
	v_fma_f16 v163, v144, s6, -v164
	v_add_f16_e32 v54, v55, v54
	v_fma_f16 v55, v117, s16, v176
	v_add_f16_e32 v180, v51, v180
	v_fma_f16 v182, v114, s6, v181
	v_add_f16_e32 v161, v163, v161
	v_fma_f16 v163, v148, s18, -v165
	v_add_f16_e32 v54, v55, v54
	v_fma_f16 v55, v119, s23, v177
	v_add_f16_e32 v180, v182, v180
	v_mul_f16_e32 v182, 0xba0c, v141
	v_add_f16_e32 v161, v163, v161
	v_fma_f16 v163, v151, s7, -v166
	v_add_f16_e32 v54, v55, v54
	v_fma_f16 v55, v123, s19, v178
	v_fma_f16 v183, v116, s13, v182
	v_add_f16_e32 v161, v163, v161
	v_fma_f16 v163, v112, s13, v167
	v_add_f16_e32 v54, v55, v54
	v_fma_f16 v55, v112, s18, -v179
	v_add_f16_e32 v180, v183, v180
	v_mul_f16_e32 v183, 0x3b47, v146
	v_add_f16_e32 v163, v51, v163
	v_fma_f16 v164, v114, s17, v169
	v_add_f16_e32 v52, v56, v52
	v_add_f16_e32 v55, v51, v55
	v_fma_f16 v56, v114, s6, -v181
	v_fma_f16 v184, v118, s7, v183
	v_add_f16_e32 v163, v164, v163
	v_fma_f16 v164, v116, s6, v170
	v_add_f16_e32 v55, v56, v55
	v_fma_f16 v56, v116, s13, -v182
	v_add_f16_e32 v180, v184, v180
	v_mul_f16_e32 v184, 0xbbeb, v150
	v_add_f16_e32 v163, v164, v163
	v_fma_f16 v164, v118, s18, v171
	v_add_f16_e32 v55, v56, v55
	v_fma_f16 v56, v118, s7, -v183
	v_add_f16_e32 v163, v164, v163
	v_fma_f16 v164, v121, s7, v172
	v_mul_f16_e32 v133, 0xb08e, v133
	v_add_f16_e32 v55, v56, v55
	v_fma_f16 v56, v121, s17, -v184
	v_add_f16_e32 v163, v164, v163
	v_fma_f16 v164, v113, s25, v133
	v_mul_f16_e32 v139, 0xbbad, v139
	v_add_f16_e32 v53, v101, v100
	v_add_f16_e32 v55, v56, v55
	v_fma_f16 v56, v113, s19, v133
	v_add_f16_e32 v164, v100, v164
	v_fma_f16 v165, v115, s21, v139
	v_mul_f16_e32 v144, 0x36a6, v144
	v_add_f16_e32 v52, v57, v52
	v_add_f16_e32 v53, v102, v53
	;; [unrolled: 1-line block ×3, first 2 shown]
	v_fma_f16 v57, v115, s20, v139
	v_add_f16_e32 v164, v165, v164
	v_fma_f16 v165, v117, s24, v144
	v_mul_f16_e32 v148, 0x3abb, v148
	v_add_f16_e32 v53, v103, v53
	v_add_f16_e32 v56, v57, v56
	v_fma_f16 v57, v117, s23, v144
	v_mul_f16_e32 v63, 0x3abb, v112
	v_mul_f16_e32 v64, 0xb853, v113
	v_add_f16_e32 v164, v165, v164
	v_fma_f16 v165, v119, s22, v148
	v_mul_f16_e32 v151, 0xb93d, v151
	v_add_f16_e32 v53, v104, v53
	v_add_f16_e32 v56, v57, v56
	v_fma_f16 v57, v119, s12, v148
	v_mul_f16_e32 v65, 0x36a6, v112
	v_mul_f16_e32 v66, 0xbb47, v113
	;; [unrolled: 1-line block ×4, first 2 shown]
	v_add_f16_e32 v164, v165, v164
	v_fma_f16 v165, v123, s26, v151
	v_mul_f16_e32 v129, 0xbbeb, v129
	v_sub_f16_e32 v64, v122, v64
	v_add_f16_e32 v63, v63, v120
	v_add_f16_e32 v53, v105, v53
	;; [unrolled: 1-line block ×3, first 2 shown]
	v_fma_f16 v57, v123, s16, v151
	v_mul_f16_e32 v69, 0xb93d, v114
	v_mul_f16_e32 v70, 0xba0c, v115
	v_mul_f16_e32 v71, 0xb08e, v116
	v_mul_f16_e32 v72, 0xbbeb, v117
	v_add_f16_e32 v164, v165, v164
	v_fma_f16 v165, v112, s17, v129
	v_mul_f16_e32 v135, 0x3482, v135
	v_sub_f16_e32 v66, v128, v66
	v_add_f16_e32 v65, v65, v126
	v_add_f16_e32 v64, v100, v64
	v_sub_f16_e32 v68, v125, v68
	v_add_f16_e32 v63, v51, v63
	v_add_f16_e32 v67, v67, v124
	v_add_f16_e32 v53, v106, v53
	v_add_f16_e32 v56, v57, v56
	v_fma_f16 v57, v112, s17, -v129
	v_mul_f16_e32 v86, 0xbbad, v116
	v_mul_f16_e32 v152, 0x3482, v117
	;; [unrolled: 1-line block ×4, first 2 shown]
	v_add_f16_e32 v165, v51, v165
	v_fma_f16 v166, v114, s18, v135
	v_mul_f16_e32 v141, 0x3b47, v141
	v_add_f16_e32 v66, v100, v66
	v_sub_f16_e32 v70, v134, v70
	v_add_f16_e32 v65, v51, v65
	v_add_f16_e32 v69, v69, v130
	;; [unrolled: 1-line block ×3, first 2 shown]
	v_sub_f16_e32 v68, v131, v72
	v_add_f16_e32 v63, v67, v63
	v_add_f16_e32 v67, v71, v127
	;; [unrolled: 1-line block ×5, first 2 shown]
	v_fma_f16 v57, v114, s18, -v135
	v_mul_f16_e32 v155, 0xb08e, v118
	v_mul_f16_e32 v156, 0x3beb, v119
	;; [unrolled: 1-line block ×4, first 2 shown]
	v_add_f16_e32 v165, v166, v165
	v_fma_f16 v166, v116, s7, v141
	v_mul_f16_e32 v146, 0xb853, v146
	v_add_f16_e32 v66, v70, v66
	v_sub_f16_e32 v70, v140, v152
	v_add_f16_e32 v65, v69, v65
	v_add_f16_e32 v69, v86, v137
	;; [unrolled: 1-line block ×3, first 2 shown]
	v_sub_f16_e32 v68, v136, v154
	v_add_f16_e32 v63, v67, v63
	v_add_f16_e32 v67, v153, v132
	;; [unrolled: 1-line block ×5, first 2 shown]
	v_fma_f16 v57, v116, s7, -v141
	v_mul_f16_e32 v159, 0x3abb, v121
	v_mul_f16_e32 v160, 0x3853, v123
	v_add_f16_e32 v165, v166, v165
	v_fma_f16 v166, v118, s6, v146
	v_mul_f16_e32 v150, 0xba0c, v150
	v_add_f16_e32 v66, v70, v66
	v_sub_f16_e32 v70, v145, v156
	v_add_f16_e32 v65, v69, v65
	v_add_f16_e32 v69, v155, v142
	;; [unrolled: 1-line block ×3, first 2 shown]
	v_sub_f16_e32 v68, v143, v158
	v_add_f16_e32 v63, v67, v63
	v_add_f16_e32 v67, v157, v138
	;; [unrolled: 1-line block ×5, first 2 shown]
	v_fma_f16 v57, v118, s6, -v146
	v_add_f16_e32 v165, v166, v165
	v_fma_f16 v166, v121, s13, v150
	v_add_f16_e32 v66, v70, v66
	v_sub_f16_e32 v70, v149, v160
	v_add_f16_e32 v65, v69, v65
	v_add_f16_e32 v69, v159, v147
	;; [unrolled: 1-line block ×7, first 2 shown]
	v_fma_f16 v57, v121, s13, -v150
	v_fma_f16 v185, v121, s17, v184
	v_add_f16_e32 v165, v166, v165
	v_add_f16_e32 v66, v70, v66
	;; [unrolled: 1-line block ×4, first 2 shown]
	v_lshlrev_b32_e32 v57, 2, v87
	v_pack_b32_f16 v58, v63, v64
	v_pack_b32_f16 v52, v52, v53
	v_add_f16_e32 v180, v185, v180
	ds_write2_b32 v57, v52, v58 offset1:1
	v_pack_b32_f16 v52, v65, v66
	v_pack_b32_f16 v53, v165, v164
	ds_write2_b32 v57, v52, v53 offset0:2 offset1:3
	v_pack_b32_f16 v52, v180, v174
	v_pack_b32_f16 v53, v163, v161
	ds_write2_b32 v57, v53, v52 offset0:4 offset1:5
	v_pack_b32_f16 v52, v168, v162
	v_pack_b32_f16 v53, v55, v54
	s_mov_b32 s6, 0x5040100
	ds_write2_b32 v57, v53, v52 offset0:6 offset1:7
	v_pack_b32_f16 v51, v51, v56
	v_perm_b32 v52, v110, v61, s6
	ds_write2_b32 v57, v51, v52 offset0:8 offset1:9
	v_perm_b32 v51, v111, v62, s6
	ds_write_b32 v57, v51 offset:40
.LBB0_17:
	s_or_b64 exec, exec, s[4:5]
	v_add_u32_e32 v51, 0x200, v73
	s_waitcnt lgkmcnt(0)
	; wave barrier
	s_waitcnt lgkmcnt(0)
	ds_read2_b32 v[65:66], v51 offset0:103 offset1:158
	v_add_u32_e32 v51, 0x600, v73
	v_add_u32_e32 v55, 0x800, v73
	;; [unrolled: 1-line block ×4, first 2 shown]
	ds_read2_b32 v[53:54], v73 offset1:55
	ds_read2_b32 v[67:68], v51 offset0:78 offset1:133
	ds_read2_b32 v[69:70], v55 offset0:181 offset1:236
	ds_read2_b32 v[71:72], v56 offset0:156 offset1:211
	ds_read2_b32 v[51:52], v73 offset0:110 offset1:165
	ds_read2_b32 v[63:64], v57 offset0:85 offset1:140
	ds_read2_b32 v[59:60], v55 offset0:60 offset1:115
	ds_read2_b32 v[55:56], v56 offset0:35 offset1:90
	v_add_u32_e32 v57, 0x1000, v73
	ds_read2_b32 v[57:58], v57 offset0:10 offset1:65
	s_and_saveexec_b64 s[4:5], s[2:3]
	s_cbranch_execz .LBB0_19
; %bb.18:
	v_add_u32_e32 v33, 0x340, v73
	ds_read2_b32 v[61:62], v33 offset0:12 offset1:243
	v_add_u32_e32 v33, 0xa80, v73
	ds_read2_b32 v[33:34], v33 offset0:10 offset1:241
	ds_read_b32 v88, v73 offset:4576
	s_waitcnt lgkmcnt(2)
	v_lshrrev_b32_e32 v110, 16, v61
	v_lshrrev_b32_e32 v111, 16, v62
	s_waitcnt lgkmcnt(1)
	v_lshrrev_b32_e32 v91, 16, v33
	v_lshrrev_b32_e32 v92, 16, v34
	s_waitcnt lgkmcnt(0)
	v_lshrrev_b32_e32 v90, 16, v88
.LBB0_19:
	s_or_b64 exec, exec, s[4:5]
	s_waitcnt lgkmcnt(9)
	v_lshrrev_b32_e32 v87, 16, v65
	v_mul_f16_sdwa v118, v4, v87 dst_sel:DWORD dst_unused:UNUSED_PAD src0_sel:WORD_1 src1_sel:DWORD
	s_waitcnt lgkmcnt(7)
	v_lshrrev_b32_e32 v98, 16, v67
	v_fma_f16 v118, v4, v65, v118
	v_mul_f16_sdwa v65, v4, v65 dst_sel:DWORD dst_unused:UNUSED_PAD src0_sel:WORD_1 src1_sel:DWORD
	v_fma_f16 v4, v4, v87, -v65
	v_mul_f16_sdwa v65, v5, v98 dst_sel:DWORD dst_unused:UNUSED_PAD src0_sel:WORD_1 src1_sel:DWORD
	s_waitcnt lgkmcnt(6)
	v_lshrrev_b32_e32 v99, 16, v69
	v_fma_f16 v65, v5, v67, v65
	v_mul_f16_sdwa v67, v5, v67 dst_sel:DWORD dst_unused:UNUSED_PAD src0_sel:WORD_1 src1_sel:DWORD
	v_fma_f16 v5, v5, v98, -v67
	;; [unrolled: 6-line block ×3, first 2 shown]
	v_mul_f16_sdwa v69, v7, v100 dst_sel:DWORD dst_unused:UNUSED_PAD src0_sel:WORD_1 src1_sel:DWORD
	v_lshrrev_b32_e32 v102, 16, v66
	v_fma_f16 v69, v7, v71, v69
	v_mul_f16_sdwa v71, v7, v71 dst_sel:DWORD dst_unused:UNUSED_PAD src0_sel:WORD_1 src1_sel:DWORD
	v_fma_f16 v7, v7, v100, -v71
	v_mul_f16_sdwa v71, v8, v102 dst_sel:DWORD dst_unused:UNUSED_PAD src0_sel:WORD_1 src1_sel:DWORD
	v_lshrrev_b32_e32 v103, 16, v68
	v_fma_f16 v71, v8, v66, v71
	v_mul_f16_sdwa v66, v8, v66 dst_sel:DWORD dst_unused:UNUSED_PAD src0_sel:WORD_1 src1_sel:DWORD
	v_fma_f16 v8, v8, v102, -v66
	;; [unrolled: 5-line block ×4, first 2 shown]
	v_mul_f16_sdwa v70, v11, v105 dst_sel:DWORD dst_unused:UNUSED_PAD src0_sel:WORD_1 src1_sel:DWORD
	s_waitcnt lgkmcnt(3)
	v_lshrrev_b32_e32 v107, 16, v63
	v_fma_f16 v70, v11, v72, v70
	v_mul_f16_sdwa v72, v11, v72 dst_sel:DWORD dst_unused:UNUSED_PAD src0_sel:WORD_1 src1_sel:DWORD
	v_fma_f16 v11, v11, v105, -v72
	v_mul_f16_sdwa v72, v12, v107 dst_sel:DWORD dst_unused:UNUSED_PAD src0_sel:WORD_1 src1_sel:DWORD
	s_waitcnt lgkmcnt(2)
	v_lshrrev_b32_e32 v108, 16, v59
	v_fma_f16 v72, v12, v63, v72
	v_mul_f16_sdwa v63, v12, v63 dst_sel:DWORD dst_unused:UNUSED_PAD src0_sel:WORD_1 src1_sel:DWORD
	v_fma_f16 v12, v12, v107, -v63
	;; [unrolled: 6-line block ×4, first 2 shown]
	v_mul_f16_sdwa v55, v15, v112 dst_sel:DWORD dst_unused:UNUSED_PAD src0_sel:WORD_1 src1_sel:DWORD
	v_lshrrev_b32_e32 v114, 16, v64
	v_fma_f16 v55, v15, v57, v55
	v_mul_f16_sdwa v57, v15, v57 dst_sel:DWORD dst_unused:UNUSED_PAD src0_sel:WORD_1 src1_sel:DWORD
	v_fma_f16 v15, v15, v112, -v57
	v_mul_f16_sdwa v57, v16, v114 dst_sel:DWORD dst_unused:UNUSED_PAD src0_sel:WORD_1 src1_sel:DWORD
	v_lshrrev_b32_e32 v115, 16, v60
	v_fma_f16 v57, v16, v64, v57
	v_mul_f16_sdwa v64, v16, v64 dst_sel:DWORD dst_unused:UNUSED_PAD src0_sel:WORD_1 src1_sel:DWORD
	v_fma_f16 v16, v16, v114, -v64
	;; [unrolled: 5-line block ×3, first 2 shown]
	v_mul_f16_sdwa v60, v18, v116 dst_sel:DWORD dst_unused:UNUSED_PAD src0_sel:WORD_1 src1_sel:DWORD
	v_add_f16_e32 v87, v65, v67
	v_lshrrev_b32_e32 v117, 16, v58
	v_fma_f16 v60, v18, v56, v60
	v_mul_f16_sdwa v56, v18, v56 dst_sel:DWORD dst_unused:UNUSED_PAD src0_sel:WORD_1 src1_sel:DWORD
	v_fma_f16 v87, v87, -0.5, v53
	v_sub_f16_e32 v98, v4, v7
	s_mov_b32 s6, 0xbb9c
	s_movk_i32 s13, 0x3b9c
	v_fma_f16 v18, v18, v116, -v56
	v_mul_f16_sdwa v56, v19, v117 dst_sel:DWORD dst_unused:UNUSED_PAD src0_sel:WORD_1 src1_sel:DWORD
	v_fma_f16 v99, v98, s6, v87
	v_sub_f16_e32 v100, v5, v6
	s_mov_b32 s7, 0xb8b4
	v_sub_f16_e32 v102, v118, v65
	v_sub_f16_e32 v103, v69, v67
	v_fma_f16 v87, v98, s13, v87
	s_movk_i32 s16, 0x38b4
	v_fma_f16 v56, v19, v58, v56
	v_mul_f16_sdwa v58, v19, v58 dst_sel:DWORD dst_unused:UNUSED_PAD src0_sel:WORD_1 src1_sel:DWORD
	v_fma_f16 v99, v100, s7, v99
	v_add_f16_e32 v102, v102, v103
	s_movk_i32 s12, 0x34f2
	v_fma_f16 v87, v100, s16, v87
	v_fma_f16 v19, v19, v117, -v58
	v_add_f16_e32 v58, v53, v118
	v_fma_f16 v99, v102, s12, v99
	v_fma_f16 v87, v102, s12, v87
	v_add_f16_e32 v102, v118, v69
	v_lshrrev_b32_e32 v86, 16, v53
	v_add_f16_e32 v58, v58, v65
	v_fma_f16 v53, v102, -0.5, v53
	v_add_f16_e32 v58, v58, v67
	v_fma_f16 v102, v100, s13, v53
	v_sub_f16_e32 v103, v65, v118
	v_sub_f16_e32 v104, v67, v69
	v_fma_f16 v53, v100, s6, v53
	v_add_f16_e32 v100, v5, v6
	v_add_f16_e32 v58, v58, v69
	v_fma_f16 v102, v98, s7, v102
	v_add_f16_e32 v103, v103, v104
	v_fma_f16 v53, v98, s16, v53
	v_fma_f16 v100, v100, -0.5, v86
	v_sub_f16_e32 v69, v118, v69
	v_fma_f16 v102, v103, s12, v102
	v_fma_f16 v53, v103, s12, v53
	;; [unrolled: 1-line block ×3, first 2 shown]
	v_sub_f16_e32 v65, v65, v67
	v_fma_f16 v67, v65, s16, v103
	v_sub_f16_e32 v103, v4, v5
	v_sub_f16_e32 v104, v7, v6
	v_fma_f16 v100, v69, s6, v100
	v_add_f16_e32 v98, v86, v4
	v_add_f16_e32 v103, v103, v104
	v_fma_f16 v100, v65, s7, v100
	v_add_f16_e32 v98, v98, v5
	v_fma_f16 v67, v103, s12, v67
	v_fma_f16 v100, v103, s12, v100
	v_add_f16_e32 v103, v4, v7
	v_add_f16_e32 v98, v98, v6
	v_fma_f16 v86, v103, -0.5, v86
	v_add_f16_e32 v98, v98, v7
	v_fma_f16 v103, v65, s6, v86
	v_sub_f16_e32 v4, v5, v4
	v_sub_f16_e32 v5, v6, v7
	v_add_f16_e32 v7, v66, v68
	v_fma_f16 v103, v69, s16, v103
	v_add_f16_e32 v4, v4, v5
	v_fma_f16 v6, v65, s13, v86
	v_fma_f16 v7, v7, -0.5, v54
	v_sub_f16_e32 v65, v8, v11
	v_fma_f16 v5, v4, s12, v103
	v_fma_f16 v6, v69, s7, v6
	;; [unrolled: 1-line block ×3, first 2 shown]
	v_sub_f16_e32 v86, v9, v10
	v_sub_f16_e32 v103, v71, v66
	;; [unrolled: 1-line block ×3, first 2 shown]
	v_fma_f16 v7, v65, s13, v7
	v_fma_f16 v69, v86, s7, v69
	v_add_f16_e32 v103, v103, v104
	v_fma_f16 v7, v86, s16, v7
	v_fma_f16 v4, v4, s12, v6
	v_add_f16_e32 v6, v54, v71
	;; [unrolled: 3-line block ×3, first 2 shown]
	v_lshrrev_b32_e32 v101, 16, v54
	v_add_f16_e32 v6, v6, v66
	v_fma_f16 v54, v103, -0.5, v54
	v_add_f16_e32 v6, v6, v68
	v_fma_f16 v103, v86, s13, v54
	v_fma_f16 v54, v86, s6, v54
	v_add_f16_e32 v86, v9, v10
	v_add_f16_e32 v6, v6, v70
	v_sub_f16_e32 v104, v66, v71
	v_sub_f16_e32 v105, v68, v70
	v_fma_f16 v86, v86, -0.5, v101
	v_sub_f16_e32 v70, v71, v70
	v_fma_f16 v103, v65, s7, v103
	v_add_f16_e32 v104, v104, v105
	v_fma_f16 v54, v65, s16, v54
	v_fma_f16 v71, v70, s13, v86
	v_sub_f16_e32 v66, v66, v68
	v_fma_f16 v103, v104, s12, v103
	v_fma_f16 v54, v104, s12, v54
	v_fma_f16 v68, v66, s16, v71
	v_sub_f16_e32 v71, v8, v9
	v_sub_f16_e32 v104, v11, v10
	v_fma_f16 v86, v70, s6, v86
	v_add_f16_e32 v65, v101, v8
	v_add_f16_e32 v71, v71, v104
	v_fma_f16 v86, v66, s7, v86
	v_add_f16_e32 v65, v65, v9
	v_fma_f16 v68, v71, s12, v68
	v_fma_f16 v71, v71, s12, v86
	v_add_f16_e32 v86, v8, v11
	v_add_f16_e32 v65, v65, v10
	v_fma_f16 v86, v86, -0.5, v101
	v_add_f16_e32 v65, v65, v11
	v_fma_f16 v101, v66, s6, v86
	v_sub_f16_e32 v8, v9, v8
	v_sub_f16_e32 v9, v10, v11
	v_add_f16_e32 v11, v63, v59
	v_fma_f16 v101, v70, s16, v101
	v_add_f16_e32 v8, v8, v9
	v_fma_f16 v10, v66, s13, v86
	v_fma_f16 v11, v11, -0.5, v51
	v_sub_f16_e32 v66, v12, v15
	v_fma_f16 v9, v8, s12, v101
	v_fma_f16 v10, v70, s7, v10
	;; [unrolled: 1-line block ×3, first 2 shown]
	v_sub_f16_e32 v86, v13, v14
	v_sub_f16_e32 v101, v72, v63
	;; [unrolled: 1-line block ×3, first 2 shown]
	v_fma_f16 v11, v66, s13, v11
	v_fma_f16 v70, v86, s7, v70
	v_add_f16_e32 v101, v101, v104
	v_fma_f16 v11, v86, s16, v11
	v_fma_f16 v8, v8, s12, v10
	v_add_f16_e32 v10, v51, v72
	v_fma_f16 v70, v101, s12, v70
	v_fma_f16 v11, v101, s12, v11
	v_add_f16_e32 v101, v72, v55
	v_lshrrev_b32_e32 v106, 16, v51
	v_add_f16_e32 v10, v10, v63
	v_fma_f16 v51, v101, -0.5, v51
	v_add_f16_e32 v10, v10, v59
	v_fma_f16 v101, v86, s13, v51
	v_fma_f16 v51, v86, s6, v51
	v_add_f16_e32 v86, v13, v14
	v_add_f16_e32 v10, v10, v55
	v_sub_f16_e32 v104, v63, v72
	v_sub_f16_e32 v105, v59, v55
	v_fma_f16 v86, v86, -0.5, v106
	v_sub_f16_e32 v55, v72, v55
	v_fma_f16 v101, v66, s7, v101
	v_add_f16_e32 v104, v104, v105
	v_fma_f16 v51, v66, s16, v51
	v_fma_f16 v72, v55, s13, v86
	v_sub_f16_e32 v59, v63, v59
	v_fma_f16 v101, v104, s12, v101
	v_fma_f16 v51, v104, s12, v51
	;; [unrolled: 1-line block ×3, first 2 shown]
	v_sub_f16_e32 v72, v12, v13
	v_sub_f16_e32 v104, v15, v14
	v_fma_f16 v86, v55, s6, v86
	v_add_f16_e32 v66, v106, v12
	v_add_f16_e32 v72, v72, v104
	v_fma_f16 v86, v59, s7, v86
	v_add_f16_e32 v66, v66, v13
	v_fma_f16 v63, v72, s12, v63
	v_fma_f16 v72, v72, s12, v86
	v_add_f16_e32 v86, v12, v15
	v_add_f16_e32 v66, v66, v14
	v_fma_f16 v86, v86, -0.5, v106
	v_add_f16_e32 v66, v66, v15
	v_fma_f16 v104, v59, s6, v86
	v_sub_f16_e32 v12, v13, v12
	v_sub_f16_e32 v13, v14, v15
	v_fma_f16 v14, v59, s13, v86
	v_add_f16_e32 v15, v64, v60
	v_fma_f16 v104, v55, s16, v104
	v_add_f16_e32 v12, v12, v13
	v_fma_f16 v14, v55, s7, v14
	v_fma_f16 v15, v15, -0.5, v52
	v_sub_f16_e32 v55, v16, v19
	v_fma_f16 v13, v12, s12, v104
	v_fma_f16 v59, v55, s6, v15
	v_sub_f16_e32 v86, v17, v18
	v_sub_f16_e32 v104, v57, v64
	;; [unrolled: 1-line block ×3, first 2 shown]
	v_fma_f16 v15, v55, s13, v15
	v_fma_f16 v59, v86, s7, v59
	v_add_f16_e32 v104, v104, v105
	v_fma_f16 v15, v86, s16, v15
	v_fma_f16 v12, v12, s12, v14
	v_add_f16_e32 v14, v52, v57
	;; [unrolled: 3-line block ×3, first 2 shown]
	v_lshrrev_b32_e32 v113, 16, v52
	v_add_f16_e32 v14, v14, v64
	v_fma_f16 v52, v104, -0.5, v52
	v_add_f16_e32 v14, v14, v60
	v_fma_f16 v104, v86, s13, v52
	v_sub_f16_e32 v105, v64, v57
	v_sub_f16_e32 v106, v60, v56
	v_fma_f16 v52, v86, s6, v52
	v_add_f16_e32 v86, v17, v18
	v_add_f16_e32 v14, v14, v56
	v_fma_f16 v104, v55, s7, v104
	v_add_f16_e32 v105, v105, v106
	v_fma_f16 v52, v55, s16, v52
	v_fma_f16 v86, v86, -0.5, v113
	v_sub_f16_e32 v56, v57, v56
	v_fma_f16 v104, v105, s12, v104
	v_fma_f16 v52, v105, s12, v52
	;; [unrolled: 1-line block ×3, first 2 shown]
	v_sub_f16_e32 v60, v64, v60
	v_sub_f16_e32 v64, v16, v17
	;; [unrolled: 1-line block ×3, first 2 shown]
	v_fma_f16 v86, v56, s6, v86
	v_fma_f16 v57, v60, s16, v57
	v_add_f16_e32 v64, v64, v105
	v_fma_f16 v86, v60, s7, v86
	v_add_f16_e32 v55, v113, v16
	v_fma_f16 v57, v64, s12, v57
	v_fma_f16 v64, v64, s12, v86
	v_add_f16_e32 v86, v16, v19
	v_add_f16_e32 v55, v55, v17
	v_fma_f16 v86, v86, -0.5, v113
	v_add_f16_e32 v55, v55, v18
	v_fma_f16 v105, v60, s6, v86
	v_sub_f16_e32 v16, v17, v16
	v_sub_f16_e32 v17, v18, v19
	v_fma_f16 v18, v60, s13, v86
	v_pack_b32_f16 v5, v102, v5
	v_pack_b32_f16 v4, v53, v4
	v_fma_f16 v105, v56, s16, v105
	v_add_f16_e32 v16, v16, v17
	v_fma_f16 v18, v56, s7, v18
	s_waitcnt lgkmcnt(0)
	; wave barrier
	ds_write2_b32 v93, v5, v4 offset0:22 offset1:33
	v_pack_b32_f16 v4, v87, v100
	v_add_f16_e32 v55, v55, v19
	v_fma_f16 v17, v16, s12, v105
	v_fma_f16 v16, v16, s12, v18
	v_pack_b32_f16 v18, v58, v98
	v_pack_b32_f16 v19, v99, v67
	ds_write_b32 v93, v4 offset:176
	v_pack_b32_f16 v4, v6, v65
	v_pack_b32_f16 v5, v69, v68
	ds_write2_b32 v93, v18, v19 offset1:11
	ds_write2_b32 v94, v4, v5 offset1:11
	v_pack_b32_f16 v4, v103, v9
	v_pack_b32_f16 v5, v54, v8
	ds_write2_b32 v94, v4, v5 offset0:22 offset1:33
	v_pack_b32_f16 v4, v7, v71
	ds_write_b32 v94, v4 offset:176
	v_pack_b32_f16 v4, v10, v66
	v_pack_b32_f16 v5, v70, v63
	ds_write2_b32 v95, v4, v5 offset1:11
	v_pack_b32_f16 v4, v101, v13
	v_pack_b32_f16 v5, v51, v12
	ds_write2_b32 v95, v4, v5 offset0:22 offset1:33
	v_pack_b32_f16 v4, v11, v72
	ds_write_b32 v95, v4 offset:176
	v_pack_b32_f16 v4, v14, v55
	v_pack_b32_f16 v5, v59, v57
	ds_write2_b32 v96, v4, v5 offset1:11
	v_pack_b32_f16 v4, v104, v17
	v_pack_b32_f16 v5, v52, v16
	ds_write2_b32 v96, v4, v5 offset0:22 offset1:33
	v_pack_b32_f16 v4, v15, v64
	ds_write_b32 v96, v4 offset:176
	s_and_saveexec_b64 s[4:5], s[2:3]
	s_cbranch_execz .LBB0_21
; %bb.20:
	v_mul_f16_sdwa v4, v1, v33 dst_sel:DWORD dst_unused:UNUSED_PAD src0_sel:WORD_1 src1_sel:DWORD
	v_mul_f16_sdwa v5, v0, v62 dst_sel:DWORD dst_unused:UNUSED_PAD src0_sel:WORD_1 src1_sel:DWORD
	;; [unrolled: 1-line block ×4, first 2 shown]
	v_fma_f16 v4, v1, v91, -v4
	v_fma_f16 v5, v0, v111, -v5
	;; [unrolled: 1-line block ×4, first 2 shown]
	v_sub_f16_e32 v6, v4, v5
	v_sub_f16_e32 v9, v7, v8
	v_add_f16_e32 v6, v6, v9
	v_mul_f16_sdwa v9, v1, v91 dst_sel:DWORD dst_unused:UNUSED_PAD src0_sel:WORD_1 src1_sel:DWORD
	v_fma_f16 v1, v1, v33, v9
	v_mul_f16_sdwa v9, v2, v92 dst_sel:DWORD dst_unused:UNUSED_PAD src0_sel:WORD_1 src1_sel:DWORD
	v_mul_f16_sdwa v12, v0, v111 dst_sel:DWORD dst_unused:UNUSED_PAD src0_sel:WORD_1 src1_sel:DWORD
	v_fma_f16 v2, v2, v34, v9
	v_add_f16_e32 v10, v5, v8
	v_fma_f16 v0, v0, v62, v12
	v_mul_f16_sdwa v12, v3, v90 dst_sel:DWORD dst_unused:UNUSED_PAD src0_sel:WORD_1 src1_sel:DWORD
	v_sub_f16_e32 v9, v1, v2
	v_fma_f16 v10, v10, -0.5, v110
	v_fma_f16 v3, v3, v88, v12
	v_fma_f16 v11, v9, s13, v10
	v_sub_f16_e32 v12, v0, v3
	v_fma_f16 v10, v9, s6, v10
	v_fma_f16 v11, v12, s7, v11
	;; [unrolled: 1-line block ×5, first 2 shown]
	v_sub_f16_e32 v10, v5, v4
	v_sub_f16_e32 v13, v8, v7
	v_add_f16_e32 v10, v10, v13
	v_add_f16_e32 v13, v4, v7
	v_fma_f16 v13, v13, -0.5, v110
	v_fma_f16 v14, v12, s6, v13
	v_fma_f16 v12, v12, s13, v13
	;; [unrolled: 1-line block ×6, first 2 shown]
	v_add_f16_e32 v10, v110, v5
	v_add_f16_e32 v10, v10, v4
	;; [unrolled: 1-line block ×4, first 2 shown]
	v_sub_f16_e32 v5, v5, v8
	v_add_f16_e32 v8, v0, v3
	v_fma_f16 v8, v8, -0.5, v61
	v_sub_f16_e32 v4, v4, v7
	v_sub_f16_e32 v12, v1, v0
	;; [unrolled: 1-line block ×3, first 2 shown]
	v_fma_f16 v7, v4, s6, v8
	v_fma_f16 v8, v4, s13, v8
	v_add_f16_e32 v12, v12, v13
	v_fma_f16 v7, v5, s16, v7
	v_fma_f16 v8, v5, s7, v8
	;; [unrolled: 1-line block ×4, first 2 shown]
	v_sub_f16_e32 v12, v0, v1
	v_sub_f16_e32 v13, v3, v2
	v_add_f16_e32 v12, v12, v13
	v_add_f16_e32 v13, v1, v2
	v_fma_f16 v13, v13, -0.5, v61
	v_add_f16_e32 v0, v61, v0
	v_fma_f16 v15, v5, s13, v13
	v_fma_f16 v5, v5, s6, v13
	v_add_f16_e32 v0, v0, v1
	v_fma_f16 v15, v4, s16, v15
	v_fma_f16 v4, v4, s7, v5
	v_add_f16_e32 v0, v0, v2
	v_fma_f16 v4, v12, s12, v4
	v_add_f16_e32 v0, v0, v3
	v_pack_b32_f16 v0, v0, v10
	v_pack_b32_f16 v1, v4, v9
	v_add_u32_e32 v2, 0x1000, v89
	v_fma_f16 v15, v12, s12, v15
	ds_write2_b32 v2, v0, v1 offset0:76 offset1:87
	v_pack_b32_f16 v0, v8, v6
	v_pack_b32_f16 v1, v7, v11
	ds_write2_b32 v2, v0, v1 offset0:98 offset1:109
	v_pack_b32_f16 v0, v15, v14
	ds_write_b32 v89, v0 offset:4576
.LBB0_21:
	s_or_b64 exec, exec, s[4:5]
	s_waitcnt lgkmcnt(0)
	; wave barrier
	s_waitcnt lgkmcnt(0)
	ds_read2_b32 v[5:6], v73 offset0:110 offset1:165
	v_add_u32_e32 v4, 0x400, v73
	ds_read2_b32 v[7:8], v4 offset0:74 offset1:129
	ds_read2_b32 v[9:10], v4 offset0:184 offset1:239
	v_add_u32_e32 v0, 0x800, v73
	ds_read2_b32 v[11:12], v0 offset0:148 offset1:203
	ds_read2_b32 v[13:14], v73 offset1:55
	s_waitcnt lgkmcnt(4)
	v_lshrrev_b32_e32 v3, 16, v6
	v_mul_f16_sdwa v86, v20, v3 dst_sel:DWORD dst_unused:UNUSED_PAD src0_sel:WORD_1 src1_sel:DWORD
	s_waitcnt lgkmcnt(3)
	v_lshrrev_b32_e32 v19, 16, v7
	v_add_u32_e32 v2, 0xc00, v73
	v_fma_f16 v86, v20, v6, v86
	v_mul_f16_sdwa v6, v20, v6 dst_sel:DWORD dst_unused:UNUSED_PAD src0_sel:WORD_1 src1_sel:DWORD
	ds_read2_b32 v[15:16], v2 offset0:2 offset1:57
	v_fma_f16 v3, v20, v3, -v6
	v_mul_f16_sdwa v6, v21, v19 dst_sel:DWORD dst_unused:UNUSED_PAD src0_sel:WORD_1 src1_sel:DWORD
	s_waitcnt lgkmcnt(3)
	v_lshrrev_b32_e32 v55, 16, v10
	v_add_u32_e32 v57, 0xe00, v73
	v_fma_f16 v6, v21, v7, v6
	v_mul_f16_sdwa v7, v21, v7 dst_sel:DWORD dst_unused:UNUSED_PAD src0_sel:WORD_1 src1_sel:DWORD
	ds_read2_b32 v[17:18], v57 offset0:94 offset1:149
	v_fma_f16 v7, v21, v19, -v7
	;; [unrolled: 8-line block ×3, first 2 shown]
	v_mul_f16_sdwa v55, v23, v56 dst_sel:DWORD dst_unused:UNUSED_PAD src0_sel:WORD_1 src1_sel:DWORD
	s_waitcnt lgkmcnt(2)
	v_lshrrev_b32_e32 v58, 16, v16
	v_fma_f16 v55, v23, v11, v55
	v_mul_f16_sdwa v11, v23, v11 dst_sel:DWORD dst_unused:UNUSED_PAD src0_sel:WORD_1 src1_sel:DWORD
	v_fma_f16 v11, v23, v56, -v11
	v_mul_f16_sdwa v56, v31, v58 dst_sel:DWORD dst_unused:UNUSED_PAD src0_sel:WORD_1 src1_sel:DWORD
	s_waitcnt lgkmcnt(1)
	v_lshrrev_b32_e32 v59, 16, v17
	v_fma_f16 v56, v31, v16, v56
	v_mul_f16_sdwa v16, v31, v16 dst_sel:DWORD dst_unused:UNUSED_PAD src0_sel:WORD_1 src1_sel:DWORD
	ds_read2_b32 v[51:52], v0 offset0:38 offset1:93
	v_fma_f16 v16, v31, v58, -v16
	v_mul_f16_sdwa v58, v32, v59 dst_sel:DWORD dst_unused:UNUSED_PAD src0_sel:WORD_1 src1_sel:DWORD
	s_waitcnt lgkmcnt(1)
	v_lshrrev_b32_e32 v60, 16, v33
	v_fma_f16 v58, v32, v17, v58
	v_mul_f16_sdwa v17, v32, v17 dst_sel:DWORD dst_unused:UNUSED_PAD src0_sel:WORD_1 src1_sel:DWORD
	v_fma_f16 v17, v32, v59, -v17
	v_mul_f16_sdwa v59, v20, v60 dst_sel:DWORD dst_unused:UNUSED_PAD src0_sel:WORD_1 src1_sel:DWORD
	v_lshrrev_b32_e32 v61, 16, v8
	v_fma_f16 v59, v20, v33, v59
	v_mul_f16_sdwa v33, v20, v33 dst_sel:DWORD dst_unused:UNUSED_PAD src0_sel:WORD_1 src1_sel:DWORD
	ds_read2_b32 v[53:54], v2 offset0:112 offset1:167
	v_fma_f16 v20, v20, v60, -v33
	v_mul_f16_sdwa v33, v21, v61 dst_sel:DWORD dst_unused:UNUSED_PAD src0_sel:WORD_1 src1_sel:DWORD
	s_waitcnt lgkmcnt(1)
	v_lshrrev_b32_e32 v62, 16, v51
	v_fma_f16 v33, v21, v8, v33
	v_mul_f16_sdwa v8, v21, v8 dst_sel:DWORD dst_unused:UNUSED_PAD src0_sel:WORD_1 src1_sel:DWORD
	v_fma_f16 v8, v21, v61, -v8
	v_mul_f16_sdwa v21, v22, v62 dst_sel:DWORD dst_unused:UNUSED_PAD src0_sel:WORD_1 src1_sel:DWORD
	v_lshrrev_b32_e32 v63, 16, v12
	v_fma_f16 v21, v22, v51, v21
	v_mul_f16_sdwa v51, v22, v51 dst_sel:DWORD dst_unused:UNUSED_PAD src0_sel:WORD_1 src1_sel:DWORD
	v_fma_f16 v22, v22, v62, -v51
	v_mul_f16_sdwa v51, v23, v63 dst_sel:DWORD dst_unused:UNUSED_PAD src0_sel:WORD_1 src1_sel:DWORD
	s_waitcnt lgkmcnt(0)
	v_lshrrev_b32_e32 v64, 16, v53
	v_fma_f16 v51, v23, v12, v51
	v_mul_f16_sdwa v12, v23, v12 dst_sel:DWORD dst_unused:UNUSED_PAD src0_sel:WORD_1 src1_sel:DWORD
	v_fma_f16 v12, v23, v63, -v12
	v_mul_f16_sdwa v23, v31, v64 dst_sel:DWORD dst_unused:UNUSED_PAD src0_sel:WORD_1 src1_sel:DWORD
	v_lshrrev_b32_e32 v65, 16, v18
	v_fma_f16 v23, v31, v53, v23
	v_mul_f16_sdwa v53, v31, v53 dst_sel:DWORD dst_unused:UNUSED_PAD src0_sel:WORD_1 src1_sel:DWORD
	v_fma_f16 v31, v31, v64, -v53
	v_mul_f16_sdwa v53, v32, v65 dst_sel:DWORD dst_unused:UNUSED_PAD src0_sel:WORD_1 src1_sel:DWORD
	;; [unrolled: 5-line block ×4, first 2 shown]
	v_lshrrev_b32_e32 v69, 16, v52
	v_fma_f16 v34, v25, v9, v34
	v_mul_f16_sdwa v9, v25, v9 dst_sel:DWORD dst_unused:UNUSED_PAD src0_sel:WORD_1 src1_sel:DWORD
	ds_read_b32 v67, v73 offset:4400
	v_fma_f16 v9, v25, v68, -v9
	v_mul_f16_sdwa v25, v26, v69 dst_sel:DWORD dst_unused:UNUSED_PAD src0_sel:WORD_1 src1_sel:DWORD
	v_lshrrev_b32_e32 v70, 16, v15
	v_fma_f16 v25, v26, v52, v25
	v_mul_f16_sdwa v52, v26, v52 dst_sel:DWORD dst_unused:UNUSED_PAD src0_sel:WORD_1 src1_sel:DWORD
	v_fma_f16 v26, v26, v69, -v52
	v_mul_f16_sdwa v52, v27, v70 dst_sel:DWORD dst_unused:UNUSED_PAD src0_sel:WORD_1 src1_sel:DWORD
	v_lshrrev_b32_e32 v71, 16, v54
	v_fma_f16 v52, v27, v15, v52
	v_mul_f16_sdwa v15, v27, v15 dst_sel:DWORD dst_unused:UNUSED_PAD src0_sel:WORD_1 src1_sel:DWORD
	v_fma_f16 v15, v27, v70, -v15
	v_mul_f16_sdwa v27, v35, v71 dst_sel:DWORD dst_unused:UNUSED_PAD src0_sel:WORD_1 src1_sel:DWORD
	s_waitcnt lgkmcnt(0)
	v_lshrrev_b32_e32 v72, 16, v67
	v_fma_f16 v27, v35, v54, v27
	v_mul_f16_sdwa v54, v35, v54 dst_sel:DWORD dst_unused:UNUSED_PAD src0_sel:WORD_1 src1_sel:DWORD
	v_fma_f16 v35, v35, v71, -v54
	v_mul_f16_sdwa v54, v36, v72 dst_sel:DWORD dst_unused:UNUSED_PAD src0_sel:WORD_1 src1_sel:DWORD
	v_mul_f16_sdwa v60, v36, v67 dst_sel:DWORD dst_unused:UNUSED_PAD src0_sel:WORD_1 src1_sel:DWORD
	v_fma_f16 v54, v36, v67, v54
	v_fma_f16 v36, v36, v72, -v60
	v_add_f16_e32 v60, v86, v58
	v_add_f16_e32 v61, v3, v17
	v_sub_f16_e32 v3, v3, v17
	v_add_f16_e32 v17, v6, v56
	v_add_f16_e32 v62, v7, v16
	v_sub_f16_e32 v58, v86, v58
	v_sub_f16_e32 v6, v6, v56
	;; [unrolled: 1-line block ×3, first 2 shown]
	v_add_f16_e32 v16, v19, v55
	v_add_f16_e32 v56, v10, v11
	v_sub_f16_e32 v19, v55, v19
	v_sub_f16_e32 v10, v11, v10
	v_add_f16_e32 v11, v17, v60
	v_add_f16_e32 v55, v62, v61
	v_sub_f16_e32 v63, v17, v60
	v_sub_f16_e32 v64, v62, v61
	;; [unrolled: 1-line block ×6, first 2 shown]
	v_add_f16_e32 v65, v19, v6
	v_add_f16_e32 v66, v10, v7
	v_sub_f16_e32 v67, v19, v6
	v_sub_f16_e32 v68, v10, v7
	;; [unrolled: 1-line block ×4, first 2 shown]
	v_add_f16_e32 v11, v16, v11
	v_add_f16_e32 v16, v56, v55
	v_sub_f16_e32 v19, v58, v19
	v_sub_f16_e32 v10, v3, v10
	v_add_f16_e32 v55, v65, v58
	v_add_f16_e32 v3, v66, v3
	;; [unrolled: 1-line block ×3, first 2 shown]
	v_add_f16_sdwa v13, v13, v16 dst_sel:DWORD dst_unused:UNUSED_PAD src0_sel:WORD_1 src1_sel:DWORD
	v_mul_f16_e32 v58, 0x3a52, v60
	v_mul_f16_e32 v60, 0x3a52, v61
	s_movk_i32 s2, 0x2b26
	v_mul_f16_e32 v61, 0x2b26, v17
	v_mul_f16_e32 v65, 0x2b26, v62
	v_mul_f16_e32 v66, 0x3846, v67
	v_mul_f16_e32 v67, 0x3846, v68
	s_mov_b32 s3, 0xbb00
	v_mul_f16_e32 v68, 0xbb00, v6
	v_mul_f16_e32 v69, 0xbb00, v7
	s_mov_b32 s4, 0xbcab
	s_movk_i32 s5, 0x39e0
	s_mov_b32 s6, 0xb9e0
	s_mov_b32 s7, 0xb574
	s_movk_i32 s12, 0x3574
	v_fma_f16 v11, v11, s4, v56
	v_fma_f16 v16, v16, s4, v13
	;; [unrolled: 1-line block ×4, first 2 shown]
	v_fma_f16 v61, v63, s5, -v61
	v_fma_f16 v65, v64, s5, -v65
	v_fma_f16 v58, v63, s6, -v58
	v_fma_f16 v60, v64, s6, -v60
	v_fma_f16 v63, v19, s7, v66
	v_fma_f16 v64, v10, s7, v67
	v_fma_f16 v7, v7, s3, -v67
	v_fma_f16 v19, v19, s12, -v68
	v_fma_f16 v10, v10, s12, -v69
	s_mov_b32 s13, 0xb70e
	v_fma_f16 v6, v6, s3, -v66
	v_add_f16_e32 v17, v17, v11
	v_add_f16_e32 v62, v62, v16
	;; [unrolled: 1-line block ×6, first 2 shown]
	v_fma_f16 v58, v55, s13, v63
	v_fma_f16 v60, v3, s13, v64
	;; [unrolled: 1-line block ×6, first 2 shown]
	v_add_f16_e32 v10, v60, v17
	v_sub_f16_e32 v55, v62, v58
	v_add_f16_e32 v63, v3, v11
	v_sub_f16_e32 v64, v16, v19
	v_sub_f16_e32 v3, v11, v3
	v_add_f16_e32 v11, v19, v16
	v_sub_f16_e32 v16, v17, v60
	v_add_f16_e32 v17, v58, v62
	v_add_f16_e32 v19, v59, v53
	;; [unrolled: 1-line block ×3, first 2 shown]
	v_sub_f16_e32 v53, v59, v53
	v_sub_f16_e32 v18, v20, v18
	v_add_f16_e32 v20, v33, v23
	v_add_f16_e32 v59, v8, v31
	v_sub_f16_e32 v23, v33, v23
	v_sub_f16_e32 v8, v8, v31
	v_add_f16_e32 v31, v21, v51
	v_add_f16_e32 v33, v22, v12
	;; [unrolled: 4-line block ×3, first 2 shown]
	v_sub_f16_e32 v66, v61, v7
	v_add_f16_e32 v67, v6, v65
	v_add_f16_e32 v7, v7, v61
	v_sub_f16_e32 v6, v65, v6
	v_sub_f16_e32 v60, v20, v19
	;; [unrolled: 1-line block ×7, first 2 shown]
	v_add_f16_e32 v62, v21, v23
	v_add_f16_e32 v65, v12, v8
	v_sub_f16_e32 v68, v21, v23
	v_sub_f16_e32 v69, v12, v8
	;; [unrolled: 1-line block ×4, first 2 shown]
	v_add_f16_e32 v22, v31, v22
	v_add_f16_e32 v31, v33, v51
	v_sub_f16_e32 v21, v53, v21
	v_sub_f16_e32 v12, v18, v12
	v_add_f16_e32 v33, v62, v53
	v_add_f16_e32 v18, v65, v18
	v_add_f16_e32 v51, v14, v22
	v_add_f16_sdwa v14, v14, v31 dst_sel:DWORD dst_unused:UNUSED_PAD src0_sel:WORD_1 src1_sel:DWORD
	v_mul_f16_e32 v19, 0x3a52, v19
	v_mul_f16_e32 v53, 0x3a52, v58
	;; [unrolled: 1-line block ×8, first 2 shown]
	v_fma_f16 v22, v22, s4, v51
	v_fma_f16 v31, v31, s4, v14
	;; [unrolled: 1-line block ×4, first 2 shown]
	v_fma_f16 v58, v60, s5, -v58
	v_fma_f16 v62, v61, s5, -v62
	;; [unrolled: 1-line block ×4, first 2 shown]
	v_fma_f16 v60, v21, s7, v65
	v_fma_f16 v61, v12, s7, v68
	v_fma_f16 v21, v21, s12, -v69
	v_fma_f16 v12, v12, s12, -v70
	;; [unrolled: 1-line block ×4, first 2 shown]
	v_add_f16_e32 v20, v20, v22
	v_add_f16_e32 v59, v59, v31
	;; [unrolled: 1-line block ×6, first 2 shown]
	v_fma_f16 v31, v33, s13, v60
	v_fma_f16 v53, v18, s13, v61
	;; [unrolled: 1-line block ×6, first 2 shown]
	v_add_f16_e32 v18, v53, v20
	v_sub_f16_e32 v33, v59, v31
	v_add_f16_e32 v60, v12, v19
	v_sub_f16_e32 v61, v22, v21
	v_sub_f16_e32 v12, v19, v12
	v_add_f16_e32 v19, v21, v22
	v_sub_f16_e32 v20, v20, v53
	v_add_f16_e32 v21, v31, v59
	v_add_f16_e32 v22, v32, v54
	;; [unrolled: 1-line block ×3, first 2 shown]
	v_sub_f16_e32 v24, v24, v36
	v_add_f16_e32 v36, v34, v27
	v_add_f16_e32 v53, v9, v35
	v_sub_f16_e32 v27, v34, v27
	v_sub_f16_e32 v9, v9, v35
	v_add_f16_e32 v34, v25, v52
	v_add_f16_e32 v35, v26, v15
	v_sub_f16_e32 v25, v52, v25
	v_sub_f16_e32 v15, v15, v26
	v_add_f16_e32 v26, v36, v22
	v_add_f16_e32 v52, v53, v31
	v_pack_b32_f16 v13, v56, v13
	v_pack_b32_f16 v10, v10, v55
	v_sub_f16_e32 v65, v58, v8
	v_add_f16_e32 v68, v23, v62
	v_add_f16_e32 v8, v8, v58
	v_sub_f16_e32 v23, v62, v23
	v_sub_f16_e32 v32, v32, v54
	;; [unrolled: 1-line block ×8, first 2 shown]
	v_add_f16_e32 v59, v25, v27
	v_add_f16_e32 v62, v15, v9
	v_sub_f16_e32 v69, v25, v27
	v_sub_f16_e32 v70, v15, v9
	v_add_f16_e32 v26, v34, v26
	v_add_f16_e32 v34, v35, v52
	s_waitcnt lgkmcnt(0)
	; wave barrier
	ds_write2_b32 v73, v13, v10 offset1:55
	v_pack_b32_f16 v10, v63, v64
	v_pack_b32_f16 v13, v66, v67
	;; [unrolled: 1-line block ×4, first 2 shown]
	v_sub_f16_e32 v25, v32, v25
	v_sub_f16_e32 v15, v24, v15
	;; [unrolled: 1-line block ×4, first 2 shown]
	v_add_f16_e32 v32, v59, v32
	v_add_f16_e32 v24, v62, v24
	;; [unrolled: 1-line block ×3, first 2 shown]
	v_add_f16_sdwa v5, v5, v34 dst_sel:DWORD dst_unused:UNUSED_PAD src0_sel:WORD_1 src1_sel:DWORD
	v_mul_f16_e32 v22, 0x3a52, v22
	v_mul_f16_e32 v31, 0x3a52, v31
	;; [unrolled: 1-line block ×6, first 2 shown]
	ds_write2_b32 v73, v10, v13 offset0:110 offset1:165
	ds_write2_b32 v1, v6, v3 offset0:92 offset1:147
	v_pack_b32_f16 v3, v16, v17
	v_pack_b32_f16 v6, v51, v14
	v_mul_f16_e32 v70, 0xbb00, v27
	v_mul_f16_e32 v71, 0xbb00, v9
	v_fma_f16 v26, v26, s4, v35
	v_fma_f16 v34, v34, s4, v5
	;; [unrolled: 1-line block ×4, first 2 shown]
	v_fma_f16 v52, v54, s5, -v52
	v_fma_f16 v59, v58, s5, -v59
	;; [unrolled: 1-line block ×4, first 2 shown]
	v_fma_f16 v54, v25, s7, v62
	v_fma_f16 v58, v15, s7, v69
	ds_write2_b32 v4, v3, v6 offset0:74 offset1:129
	v_pack_b32_f16 v3, v18, v33
	v_pack_b32_f16 v6, v60, v61
	v_fma_f16 v27, v27, s3, -v62
	v_fma_f16 v9, v9, s3, -v69
	;; [unrolled: 1-line block ×4, first 2 shown]
	v_add_f16_e32 v36, v36, v26
	v_add_f16_e32 v53, v53, v34
	;; [unrolled: 1-line block ×6, first 2 shown]
	v_fma_f16 v31, v32, s13, v54
	v_fma_f16 v34, v24, s13, v58
	ds_write2_b32 v4, v3, v6 offset0:184 offset1:239
	v_pack_b32_f16 v3, v65, v68
	v_pack_b32_f16 v6, v8, v23
	v_fma_f16 v27, v32, s13, v27
	v_fma_f16 v9, v24, s13, v9
	;; [unrolled: 1-line block ×4, first 2 shown]
	v_add_f16_e32 v24, v34, v36
	v_sub_f16_e32 v32, v53, v31
	ds_write2_b32 v0, v3, v6 offset0:38 offset1:93
	v_pack_b32_f16 v3, v12, v19
	v_pack_b32_f16 v6, v20, v21
	v_add_f16_e32 v54, v15, v22
	v_sub_f16_e32 v58, v26, v25
	v_sub_f16_e32 v62, v52, v9
	v_add_f16_e32 v69, v27, v59
	ds_write2_b32 v0, v3, v6 offset0:148 offset1:203
	v_pack_b32_f16 v3, v35, v5
	v_pack_b32_f16 v5, v24, v32
	v_add_u32_e32 v6, 0xc00, v97
	v_add_f16_e32 v9, v9, v52
	v_sub_f16_e32 v27, v59, v27
	v_sub_f16_e32 v15, v22, v15
	v_add_f16_e32 v22, v25, v26
	ds_write2_b32 v6, v3, v5 offset0:2 offset1:57
	v_pack_b32_f16 v3, v54, v58
	v_pack_b32_f16 v5, v62, v69
	v_sub_f16_e32 v25, v36, v34
	v_add_f16_e32 v26, v31, v53
	ds_write2_b32 v6, v3, v5 offset0:112 offset1:167
	v_pack_b32_f16 v3, v9, v27
	v_pack_b32_f16 v5, v15, v22
	v_add_u32_e32 v6, 0xe00, v97
	ds_write2_b32 v6, v3, v5 offset0:94 offset1:149
	v_pack_b32_f16 v3, v25, v26
	ds_write_b32 v97, v3 offset:4400
	s_waitcnt lgkmcnt(0)
	; wave barrier
	s_waitcnt lgkmcnt(0)
	ds_read2_b32 v[5:6], v73 offset1:55
	ds_read2_b32 v[7:8], v4 offset0:74 offset1:129
	ds_read2_b32 v[9:10], v2 offset0:2 offset1:57
	ds_read2_b32 v[11:12], v4 offset0:184 offset1:239
	ds_read2_b32 v[21:22], v57 offset0:94 offset1:149
	ds_read2_b32 v[17:18], v0 offset0:38 offset1:93
	s_waitcnt lgkmcnt(4)
	v_lshrrev_b32_e32 v25, 16, v8
	v_mul_f16_sdwa v63, v37, v25 dst_sel:DWORD dst_unused:UNUSED_PAD src0_sel:WORD_1 src1_sel:DWORD
	s_waitcnt lgkmcnt(3)
	v_lshrrev_b32_e32 v26, 16, v9
	v_fma_f16 v63, v37, v8, v63
	v_mul_f16_sdwa v8, v37, v8 dst_sel:DWORD dst_unused:UNUSED_PAD src0_sel:WORD_1 src1_sel:DWORD
	ds_read2_b32 v[23:24], v0 offset0:148 offset1:203
	v_fma_f16 v8, v37, v25, -v8
	v_mul_f16_sdwa v25, v38, v26 dst_sel:DWORD dst_unused:UNUSED_PAD src0_sel:WORD_1 src1_sel:DWORD
	s_waitcnt lgkmcnt(3)
	v_lshrrev_b32_e32 v31, 16, v11
	v_fma_f16 v25, v38, v9, v25
	v_mul_f16_sdwa v9, v38, v9 dst_sel:DWORD dst_unused:UNUSED_PAD src0_sel:WORD_1 src1_sel:DWORD
	v_fma_f16 v9, v38, v26, -v9
	v_mul_f16_sdwa v26, v39, v31 dst_sel:DWORD dst_unused:UNUSED_PAD src0_sel:WORD_1 src1_sel:DWORD
	v_lshrrev_b32_e32 v32, 16, v10
	s_waitcnt lgkmcnt(2)
	v_lshrrev_b32_e32 v55, 16, v21
	v_fma_f16 v26, v39, v11, v26
	v_mul_f16_sdwa v11, v39, v11 dst_sel:DWORD dst_unused:UNUSED_PAD src0_sel:WORD_1 src1_sel:DWORD
	s_waitcnt lgkmcnt(1)
	v_lshrrev_b32_e32 v54, 16, v18
	v_fma_f16 v11, v39, v31, -v11
	v_mul_f16_sdwa v31, v40, v32 dst_sel:DWORD dst_unused:UNUSED_PAD src0_sel:WORD_1 src1_sel:DWORD
	v_mul_f16_sdwa v39, v46, v55 dst_sel:DWORD dst_unused:UNUSED_PAD src0_sel:WORD_1 src1_sel:DWORD
	ds_read2_b32 v[15:16], v2 offset0:112 offset1:167
	s_waitcnt lgkmcnt(1)
	v_lshrrev_b32_e32 v58, 16, v23
	v_fma_f16 v31, v40, v10, v31
	v_mul_f16_sdwa v10, v40, v10 dst_sel:DWORD dst_unused:UNUSED_PAD src0_sel:WORD_1 src1_sel:DWORD
	v_mul_f16_sdwa v38, v45, v54 dst_sel:DWORD dst_unused:UNUSED_PAD src0_sel:WORD_1 src1_sel:DWORD
	v_fma_f16 v39, v46, v21, v39
	v_mul_f16_sdwa v21, v46, v21 dst_sel:DWORD dst_unused:UNUSED_PAD src0_sel:WORD_1 src1_sel:DWORD
	v_lshrrev_b32_e32 v34, 16, v12
	v_fma_f16 v10, v40, v32, -v10
	v_fma_f16 v38, v45, v18, v38
	v_mul_f16_sdwa v18, v45, v18 dst_sel:DWORD dst_unused:UNUSED_PAD src0_sel:WORD_1 src1_sel:DWORD
	v_fma_f16 v21, v46, v55, -v21
	v_mul_f16_sdwa v40, v47, v58 dst_sel:DWORD dst_unused:UNUSED_PAD src0_sel:WORD_1 src1_sel:DWORD
	v_add_f16_e32 v46, v63, v25
	v_lshrrev_b32_e32 v3, 16, v5
	v_mul_f16_sdwa v32, v41, v34 dst_sel:DWORD dst_unused:UNUSED_PAD src0_sel:WORD_1 src1_sel:DWORD
	v_fma_f16 v18, v45, v54, -v18
	v_fma_f16 v40, v47, v23, v40
	v_mul_f16_sdwa v23, v47, v23 dst_sel:DWORD dst_unused:UNUSED_PAD src0_sel:WORD_1 src1_sel:DWORD
	v_add_f16_e32 v45, v5, v63
	v_fma_f16 v5, v46, -0.5, v5
	v_sub_f16_e32 v46, v8, v9
	s_mov_b32 s2, 0xbaee
	s_movk_i32 s3, 0x3aee
	v_lshrrev_b32_e32 v59, 16, v22
	v_fma_f16 v32, v41, v12, v32
	v_mul_f16_sdwa v12, v41, v12 dst_sel:DWORD dst_unused:UNUSED_PAD src0_sel:WORD_1 src1_sel:DWORD
	v_fma_f16 v23, v47, v58, -v23
	v_fma_f16 v47, v46, s2, v5
	v_fma_f16 v5, v46, s3, v5
	v_add_f16_e32 v46, v3, v8
	v_add_f16_e32 v8, v8, v9
	ds_read2_b32 v[13:14], v73 offset0:110 offset1:165
	v_fma_f16 v12, v41, v34, -v12
	v_mul_f16_sdwa v41, v48, v59 dst_sel:DWORD dst_unused:UNUSED_PAD src0_sel:WORD_1 src1_sel:DWORD
	v_add_f16_e32 v45, v45, v25
	v_fma_f16 v3, v8, -0.5, v3
	v_sub_f16_e32 v8, v63, v25
	v_add_f16_e32 v25, v26, v31
	v_lshrrev_b32_e32 v27, 16, v6
	s_waitcnt lgkmcnt(1)
	v_lshrrev_b32_e32 v35, 16, v15
	v_fma_f16 v41, v48, v22, v41
	v_mul_f16_sdwa v22, v48, v22 dst_sel:DWORD dst_unused:UNUSED_PAD src0_sel:WORD_1 src1_sel:DWORD
	v_add_f16_e32 v46, v46, v9
	v_fma_f16 v9, v8, s3, v3
	v_fma_f16 v3, v8, s2, v3
	v_add_f16_e32 v8, v6, v26
	v_fma_f16 v6, v25, -0.5, v6
	v_sub_f16_e32 v25, v11, v10
	v_mul_f16_sdwa v34, v42, v35 dst_sel:DWORD dst_unused:UNUSED_PAD src0_sel:WORD_1 src1_sel:DWORD
	v_fma_f16 v22, v48, v59, -v22
	v_fma_f16 v48, v25, s2, v6
	v_fma_f16 v6, v25, s3, v6
	v_add_f16_e32 v25, v27, v11
	v_fma_f16 v34, v42, v15, v34
	v_mul_f16_sdwa v15, v42, v15 dst_sel:DWORD dst_unused:UNUSED_PAD src0_sel:WORD_1 src1_sel:DWORD
	v_add_f16_e32 v25, v25, v10
	v_add_f16_e32 v10, v11, v10
	v_lshrrev_b32_e32 v51, 16, v17
	v_lshrrev_b32_e32 v52, 16, v16
	v_fma_f16 v15, v42, v35, -v15
	v_fma_f16 v10, v10, -0.5, v27
	v_sub_f16_e32 v11, v26, v31
	v_add_f16_e32 v27, v32, v34
	s_waitcnt lgkmcnt(0)
	v_lshrrev_b32_e32 v33, 16, v13
	v_mul_f16_sdwa v35, v43, v51 dst_sel:DWORD dst_unused:UNUSED_PAD src0_sel:WORD_1 src1_sel:DWORD
	v_mul_f16_sdwa v37, v44, v52 dst_sel:DWORD dst_unused:UNUSED_PAD src0_sel:WORD_1 src1_sel:DWORD
	v_fma_f16 v26, v11, s3, v10
	v_fma_f16 v10, v11, s2, v10
	v_add_f16_e32 v11, v13, v32
	v_fma_f16 v13, v27, -0.5, v13
	v_sub_f16_e32 v27, v12, v15
	v_fma_f16 v35, v43, v17, v35
	v_mul_f16_sdwa v17, v43, v17 dst_sel:DWORD dst_unused:UNUSED_PAD src0_sel:WORD_1 src1_sel:DWORD
	v_fma_f16 v37, v44, v16, v37
	v_mul_f16_sdwa v16, v44, v16 dst_sel:DWORD dst_unused:UNUSED_PAD src0_sel:WORD_1 src1_sel:DWORD
	v_add_f16_e32 v8, v8, v31
	v_fma_f16 v31, v27, s2, v13
	v_fma_f16 v13, v27, s3, v13
	v_add_f16_e32 v27, v33, v12
	v_add_f16_e32 v12, v12, v15
	ds_read2_b32 v[19:20], v1 offset0:92 offset1:147
	v_fma_f16 v17, v43, v51, -v17
	v_fma_f16 v16, v44, v52, -v16
	v_add_f16_e32 v27, v27, v15
	v_fma_f16 v12, v12, -0.5, v33
	v_sub_f16_e32 v15, v32, v34
	v_add_f16_e32 v33, v35, v37
	v_lshrrev_b32_e32 v36, 16, v14
	v_fma_f16 v32, v15, s3, v12
	v_fma_f16 v12, v15, s2, v12
	v_add_f16_e32 v15, v14, v35
	v_fma_f16 v14, v33, -0.5, v14
	v_sub_f16_e32 v33, v17, v16
	v_add_f16_e32 v11, v11, v34
	v_fma_f16 v34, v33, s2, v14
	v_fma_f16 v14, v33, s3, v14
	v_add_f16_e32 v33, v36, v17
	ds_read_b32 v57, v73 offset:4400
	v_add_f16_e32 v33, v33, v16
	v_add_f16_e32 v16, v17, v16
	v_fma_f16 v16, v16, -0.5, v36
	v_sub_f16_e32 v17, v35, v37
	v_add_f16_e32 v36, v38, v39
	s_waitcnt lgkmcnt(1)
	v_lshrrev_b32_e32 v53, 16, v19
	v_fma_f16 v35, v17, s3, v16
	v_fma_f16 v16, v17, s2, v16
	v_add_f16_e32 v17, v19, v38
	v_fma_f16 v19, v36, -0.5, v19
	v_sub_f16_e32 v36, v18, v21
	v_lshrrev_b32_e32 v61, 16, v24
	v_add_f16_e32 v15, v15, v37
	v_fma_f16 v37, v36, s2, v19
	v_fma_f16 v19, v36, s3, v19
	v_add_f16_e32 v36, v53, v18
	v_add_f16_e32 v18, v18, v21
	v_mul_f16_sdwa v42, v49, v61 dst_sel:DWORD dst_unused:UNUSED_PAD src0_sel:WORD_1 src1_sel:DWORD
	v_add_f16_e32 v17, v17, v39
	v_add_f16_e32 v36, v36, v21
	v_fma_f16 v18, v18, -0.5, v53
	v_sub_f16_e32 v21, v38, v39
	v_add_f16_e32 v39, v40, v41
	v_lshrrev_b32_e32 v56, 16, v20
	s_waitcnt lgkmcnt(0)
	v_lshrrev_b32_e32 v62, 16, v57
	v_fma_f16 v42, v49, v24, v42
	v_mul_f16_sdwa v24, v49, v24 dst_sel:DWORD dst_unused:UNUSED_PAD src0_sel:WORD_1 src1_sel:DWORD
	v_fma_f16 v38, v21, s3, v18
	v_fma_f16 v18, v21, s2, v18
	v_add_f16_e32 v21, v20, v40
	v_fma_f16 v20, v39, -0.5, v20
	v_sub_f16_e32 v39, v23, v22
	v_fma_f16 v24, v49, v61, -v24
	v_mul_f16_sdwa v43, v50, v62 dst_sel:DWORD dst_unused:UNUSED_PAD src0_sel:WORD_1 src1_sel:DWORD
	v_fma_f16 v49, v39, s2, v20
	v_fma_f16 v20, v39, s3, v20
	v_add_f16_e32 v39, v56, v23
	v_fma_f16 v43, v50, v57, v43
	v_mul_f16_sdwa v44, v50, v57 dst_sel:DWORD dst_unused:UNUSED_PAD src0_sel:WORD_1 src1_sel:DWORD
	v_add_f16_e32 v39, v39, v22
	v_add_f16_e32 v22, v23, v22
	v_fma_f16 v44, v50, v62, -v44
	v_add_f16_e32 v21, v21, v41
	v_fma_f16 v22, v22, -0.5, v56
	v_sub_f16_e32 v23, v40, v41
	v_add_f16_e32 v41, v42, v43
	v_lshrrev_b32_e32 v60, 16, v7
	v_fma_f16 v40, v23, s3, v22
	v_fma_f16 v22, v23, s2, v22
	v_add_f16_e32 v23, v7, v42
	v_fma_f16 v7, v41, -0.5, v7
	v_sub_f16_e32 v41, v24, v44
	v_fma_f16 v50, v41, s2, v7
	v_fma_f16 v7, v41, s3, v7
	v_add_f16_e32 v41, v60, v24
	v_add_f16_e32 v24, v24, v44
	v_fma_f16 v24, v24, -0.5, v60
	v_sub_f16_e32 v42, v42, v43
	v_add_f16_e32 v23, v23, v43
	v_fma_f16 v43, v42, s3, v24
	v_fma_f16 v24, v42, s2, v24
	v_pack_b32_f16 v42, v45, v46
	v_pack_b32_f16 v3, v5, v3
	;; [unrolled: 1-line block ×4, first 2 shown]
	ds_write2_b32 v73, v42, v5 offset1:55
	v_pack_b32_f16 v5, v48, v26
	ds_write2_b32 v4, v9, v5 offset0:129 offset1:184
	v_pack_b32_f16 v5, v6, v10
	ds_write2_b32 v2, v3, v5 offset0:2 offset1:57
	v_pack_b32_f16 v3, v11, v27
	v_pack_b32_f16 v5, v15, v33
	;; [unrolled: 1-line block ×3, first 2 shown]
	ds_write2_b32 v73, v3, v5 offset0:110 offset1:165
	v_pack_b32_f16 v3, v34, v35
	v_add_u32_e32 v5, 0x600, v73
	v_pack_b32_f16 v8, v13, v12
	ds_write2_b32 v5, v6, v3 offset0:111 offset1:166
	v_pack_b32_f16 v3, v14, v16
	ds_write2_b32 v2, v8, v3 offset0:112 offset1:167
	v_pack_b32_f16 v8, v19, v18
	v_pack_b32_f16 v3, v17, v36
	ds_write_b32 v73, v8 offset:3960
	v_pack_b32_f16 v8, v21, v39
	v_add_f16_e32 v41, v41, v44
	v_pack_b32_f16 v6, v37, v38
	ds_write2_b32 v1, v3, v8 offset0:92 offset1:147
	v_pack_b32_f16 v3, v49, v40
	ds_write2_b32 v0, v6, v3 offset0:93 offset1:148
	v_pack_b32_f16 v6, v23, v41
	ds_write_b32 v73, v6 offset:1320
	v_pack_b32_f16 v6, v50, v43
	v_pack_b32_f16 v3, v20, v22
	ds_write_b32 v73, v6 offset:2860
	v_pack_b32_f16 v6, v7, v24
	v_add_u32_e32 v7, 0x1000, v73
	ds_write2_b32 v7, v3, v6 offset0:21 offset1:76
	s_waitcnt lgkmcnt(0)
	; wave barrier
	s_waitcnt lgkmcnt(0)
	ds_read2_b32 v[6:7], v73 offset1:105
	s_mov_b32 s6, 0x33a4aea8
	s_mov_b32 s7, 0x3f4c5edd
	v_mad_u64_u32 v[8:9], s[2:3], s10, v30, 0
	s_waitcnt lgkmcnt(0)
	v_lshrrev_b32_e32 v14, 16, v6
	v_mul_f16_sdwa v3, v85, v14 dst_sel:DWORD dst_unused:UNUSED_PAD src0_sel:WORD_1 src1_sel:DWORD
	v_fma_f16 v3, v85, v6, v3
	v_cvt_f32_f16_e32 v3, v3
	s_movk_i32 s17, 0x1ff
	s_movk_i32 s12, 0xffe
	v_mul_f16_sdwa v6, v85, v6 dst_sel:DWORD dst_unused:UNUSED_PAD src0_sel:WORD_1 src1_sel:DWORD
	v_cvt_f64_f32_e32 v[10:11], v3
	v_mov_b32_e32 v3, v9
	v_mad_u64_u32 v[12:13], s[2:3], s11, v30, v[3:4]
	v_mul_f64 v[10:11], v[10:11], s[6:7]
	v_fma_f16 v6, v85, v14, -v6
	v_mov_b32_e32 v9, v12
	v_cvt_f32_f16_e32 v6, v6
	s_movk_i32 s13, 0x40f
	s_mov_b32 s16, 0x8000
	v_lshlrev_b64 v[8:9], 2, v[8:9]
	s_movk_i32 s18, 0x1000
	v_and_or_b32 v3, v11, s17, v10
	v_cmp_ne_u32_e32 vcc, 0, v3
	v_cndmask_b32_e64 v3, 0, 1, vcc
	v_lshrrev_b32_e32 v10, 8, v11
	v_bfe_u32 v12, v11, 20, 11
	v_and_or_b32 v10, v10, s12, v3
	v_sub_u32_e32 v13, 0x3f1, v12
	v_or_b32_e32 v3, 0x1000, v10
	v_med3_i32 v13, v13, 0, 13
	v_lshrrev_b32_e32 v15, v13, v3
	v_lshlrev_b32_e32 v13, v13, v15
	v_cmp_ne_u32_e32 vcc, v13, v3
	v_cndmask_b32_e64 v3, 0, 1, vcc
	v_or_b32_e32 v3, v15, v3
	v_add_u32_e32 v15, 0xfffffc10, v12
	v_lshl_or_b32 v12, v15, 12, v10
	v_cmp_gt_i32_e32 vcc, 1, v15
	v_cndmask_b32_e32 v3, v12, v3, vcc
	v_and_b32_e32 v12, 7, v3
	v_cmp_lt_i32_e32 vcc, 5, v12
	v_cmp_eq_u32_e64 s[2:3], 3, v12
	v_cvt_f64_f32_e32 v[12:13], v6
	v_lshrrev_b32_e32 v3, 2, v3
	s_or_b64 vcc, s[2:3], vcc
	v_addc_co_u32_e32 v14, vcc, 0, v3, vcc
	v_mul_f64 v[12:13], v[12:13], s[6:7]
	v_mov_b32_e32 v3, 0x7c00
	v_cmp_gt_i32_e32 vcc, 31, v15
	v_cndmask_b32_e32 v6, v3, v14, vcc
	v_cmp_ne_u32_e32 vcc, 0, v10
	v_cndmask_b32_e64 v10, 0, 1, vcc
	v_lshl_or_b32 v10, v10, 9, v3
	v_cmp_eq_u32_e32 vcc, s13, v15
	v_cndmask_b32_e32 v6, v6, v10, vcc
	v_lshrrev_b32_e32 v10, 16, v11
	v_and_or_b32 v14, v10, s16, v6
	v_and_or_b32 v6, v13, s17, v12
	v_cmp_ne_u32_e32 vcc, 0, v6
	v_cndmask_b32_e64 v6, 0, 1, vcc
	v_lshrrev_b32_e32 v10, 8, v13
	v_bfe_u32 v11, v13, 20, 11
	v_and_or_b32 v6, v10, s12, v6
	v_sub_u32_e32 v12, 0x3f1, v11
	v_or_b32_e32 v10, 0x1000, v6
	v_med3_i32 v12, v12, 0, 13
	v_lshrrev_b32_e32 v15, v12, v10
	v_lshlrev_b32_e32 v12, v12, v15
	v_cmp_ne_u32_e32 vcc, v12, v10
	v_cndmask_b32_e64 v10, 0, 1, vcc
	v_add_u32_e32 v12, 0xfffffc10, v11
	v_or_b32_e32 v10, v15, v10
	v_lshl_or_b32 v11, v12, 12, v6
	v_cmp_gt_i32_e32 vcc, 1, v12
	v_cndmask_b32_e32 v10, v11, v10, vcc
	v_and_b32_e32 v11, 7, v10
	v_cmp_lt_i32_e32 vcc, 5, v11
	v_cmp_eq_u32_e64 s[2:3], 3, v11
	v_lshrrev_b32_e32 v10, 2, v10
	s_or_b64 vcc, s[2:3], vcc
	v_addc_co_u32_e32 v10, vcc, 0, v10, vcc
	v_cmp_gt_i32_e32 vcc, 31, v12
	v_cndmask_b32_e32 v15, v3, v10, vcc
	v_mad_u64_u32 v[10:11], s[2:3], s8, v84, 0
	v_cmp_ne_u32_e32 vcc, 0, v6
	v_cndmask_b32_e64 v6, 0, 1, vcc
	v_lshl_or_b32 v6, v6, 9, v3
	v_cmp_eq_u32_e32 vcc, s13, v12
	v_cndmask_b32_e32 v15, v15, v6, vcc
	v_mov_b32_e32 v6, v11
	v_mad_u64_u32 v[11:12], s[2:3], s9, v84, v[6:7]
	v_lshrrev_b32_e32 v6, 16, v7
	v_mul_f16_sdwa v12, v83, v6 dst_sel:DWORD dst_unused:UNUSED_PAD src0_sel:WORD_1 src1_sel:DWORD
	v_fma_f16 v12, v83, v7, v12
	v_cvt_f32_f16_e32 v12, v12
	v_lshrrev_b32_e32 v13, 16, v13
	v_and_or_b32 v15, v13, s16, v15
	v_and_b32_e32 v14, 0xffff, v14
	v_cvt_f64_f32_e32 v[12:13], v12
	v_lshl_or_b32 v14, v15, 16, v14
	v_mov_b32_e32 v15, s15
	v_add_co_u32_e32 v16, vcc, s14, v8
	v_mul_f64 v[12:13], v[12:13], s[6:7]
	v_addc_co_u32_e32 v15, vcc, v15, v9, vcc
	v_lshlrev_b64 v[8:9], 2, v[10:11]
	v_mul_f16_sdwa v7, v83, v7 dst_sel:DWORD dst_unused:UNUSED_PAD src0_sel:WORD_1 src1_sel:DWORD
	v_add_co_u32_e32 v8, vcc, v16, v8
	v_addc_co_u32_e32 v9, vcc, v15, v9, vcc
	v_and_or_b32 v10, v13, s17, v12
	v_cmp_ne_u32_e32 vcc, 0, v10
	v_fma_f16 v6, v83, v6, -v7
	v_cndmask_b32_e64 v10, 0, 1, vcc
	v_lshrrev_b32_e32 v11, 8, v13
	v_bfe_u32 v12, v13, 20, 11
	v_cvt_f32_f16_e32 v6, v6
	global_store_dword v[8:9], v14, off
	v_and_or_b32 v10, v11, s12, v10
	v_sub_u32_e32 v14, 0x3f1, v12
	v_or_b32_e32 v11, 0x1000, v10
	v_med3_i32 v14, v14, 0, 13
	v_lshrrev_b32_e32 v15, v14, v11
	v_lshlrev_b32_e32 v14, v14, v15
	v_cvt_f64_f32_e32 v[6:7], v6
	v_cmp_ne_u32_e32 vcc, v14, v11
	v_cndmask_b32_e64 v11, 0, 1, vcc
	v_add_u32_e32 v12, 0xfffffc10, v12
	v_or_b32_e32 v11, v15, v11
	v_lshl_or_b32 v14, v12, 12, v10
	v_cmp_gt_i32_e32 vcc, 1, v12
	v_cndmask_b32_e32 v11, v14, v11, vcc
	v_mul_f64 v[6:7], v[6:7], s[6:7]
	v_and_b32_e32 v14, 7, v11
	v_cmp_lt_i32_e32 vcc, 5, v14
	v_cmp_eq_u32_e64 s[2:3], 3, v14
	v_lshrrev_b32_e32 v11, 2, v11
	s_or_b64 vcc, s[2:3], vcc
	v_addc_co_u32_e32 v11, vcc, 0, v11, vcc
	v_cmp_gt_i32_e32 vcc, 31, v12
	v_cndmask_b32_e32 v11, v3, v11, vcc
	v_cmp_ne_u32_e32 vcc, 0, v10
	v_cndmask_b32_e64 v10, 0, 1, vcc
	v_lshl_or_b32 v10, v10, 9, v3
	v_cmp_eq_u32_e32 vcc, s13, v12
	v_and_or_b32 v6, v7, s17, v6
	v_cndmask_b32_e32 v10, v11, v10, vcc
	v_lshrrev_b32_e32 v11, 16, v13
	v_cmp_ne_u32_e32 vcc, 0, v6
	v_and_or_b32 v12, v11, s16, v10
	v_cndmask_b32_e64 v6, 0, 1, vcc
	v_lshrrev_b32_e32 v10, 8, v7
	v_bfe_u32 v11, v7, 20, 11
	v_and_or_b32 v6, v10, s12, v6
	v_sub_u32_e32 v13, 0x3f1, v11
	v_or_b32_e32 v10, 0x1000, v6
	v_med3_i32 v13, v13, 0, 13
	v_lshrrev_b32_e32 v14, v13, v10
	v_lshlrev_b32_e32 v13, v13, v14
	v_cmp_ne_u32_e32 vcc, v13, v10
	v_cndmask_b32_e64 v10, 0, 1, vcc
	v_add_u32_e32 v13, 0xfffffc10, v11
	v_or_b32_e32 v10, v14, v10
	v_lshl_or_b32 v11, v13, 12, v6
	v_cmp_gt_i32_e32 vcc, 1, v13
	v_cndmask_b32_e32 v10, v11, v10, vcc
	v_and_b32_e32 v11, 7, v10
	v_cmp_lt_i32_e32 vcc, 5, v11
	v_cmp_eq_u32_e64 s[2:3], 3, v11
	v_lshrrev_b32_e32 v10, 2, v10
	s_or_b64 vcc, s[2:3], vcc
	v_addc_co_u32_e32 v10, vcc, 0, v10, vcc
	v_cmp_gt_i32_e32 vcc, 31, v13
	v_cndmask_b32_e32 v14, v3, v10, vcc
	ds_read2_b32 v[10:11], v1 offset0:82 offset1:187
	v_cmp_ne_u32_e32 vcc, 0, v6
	v_cndmask_b32_e64 v6, 0, 1, vcc
	v_lshl_or_b32 v6, v6, 9, v3
	v_cmp_eq_u32_e32 vcc, s13, v13
	v_cndmask_b32_e32 v1, v14, v6, vcc
	v_lshrrev_b32_e32 v6, 16, v7
	s_waitcnt lgkmcnt(0)
	v_lshrrev_b32_e32 v13, 16, v10
	v_and_or_b32 v1, v6, s16, v1
	v_mul_f16_sdwa v6, v82, v13 dst_sel:DWORD dst_unused:UNUSED_PAD src0_sel:WORD_1 src1_sel:DWORD
	v_fma_f16 v6, v82, v10, v6
	v_cvt_f32_f16_e32 v6, v6
	s_mul_i32 s2, s9, 0x69
	s_mul_hi_u32 s3, s8, 0x69
	s_add_i32 s3, s3, s2
	v_cvt_f64_f32_e32 v[6:7], v6
	s_mul_i32 s2, s8, 0x69
	v_and_b32_e32 v12, 0xffff, v12
	s_lshl_b64 s[10:11], s[2:3], 2
	v_mul_f64 v[6:7], v[6:7], s[6:7]
	v_lshl_or_b32 v12, v1, 16, v12
	v_mov_b32_e32 v1, s11
	v_add_co_u32_e32 v8, vcc, s10, v8
	v_addc_co_u32_e32 v9, vcc, v9, v1, vcc
	global_store_dword v[8:9], v12, off
	v_and_or_b32 v6, v7, s17, v6
	v_cmp_ne_u32_e32 vcc, 0, v6
	v_cndmask_b32_e64 v6, 0, 1, vcc
	v_lshrrev_b32_e32 v12, 8, v7
	v_bfe_u32 v14, v7, 20, 11
	v_and_or_b32 v6, v12, s12, v6
	v_sub_u32_e32 v15, 0x3f1, v14
	v_or_b32_e32 v12, 0x1000, v6
	v_med3_i32 v15, v15, 0, 13
	v_lshrrev_b32_e32 v16, v15, v12
	v_lshlrev_b32_e32 v15, v15, v16
	v_mul_f16_sdwa v10, v82, v10 dst_sel:DWORD dst_unused:UNUSED_PAD src0_sel:WORD_1 src1_sel:DWORD
	v_cmp_ne_u32_e32 vcc, v15, v12
	v_fma_f16 v10, v82, v13, -v10
	v_cndmask_b32_e64 v12, 0, 1, vcc
	v_add_u32_e32 v14, 0xfffffc10, v14
	v_cvt_f32_f16_e32 v10, v10
	v_or_b32_e32 v12, v16, v12
	v_lshl_or_b32 v15, v14, 12, v6
	v_cmp_gt_i32_e32 vcc, 1, v14
	v_cndmask_b32_e32 v12, v15, v12, vcc
	v_and_b32_e32 v15, 7, v12
	v_cmp_lt_i32_e32 vcc, 5, v15
	v_cmp_eq_u32_e64 s[2:3], 3, v15
	v_lshrrev_b32_e32 v15, 2, v12
	v_cvt_f64_f32_e32 v[12:13], v10
	s_or_b64 vcc, s[2:3], vcc
	v_addc_co_u32_e32 v10, vcc, 0, v15, vcc
	v_mul_f64 v[12:13], v[12:13], s[6:7]
	v_cmp_gt_i32_e32 vcc, 31, v14
	v_cndmask_b32_e32 v10, v3, v10, vcc
	v_cmp_ne_u32_e32 vcc, 0, v6
	v_cndmask_b32_e64 v6, 0, 1, vcc
	v_lshl_or_b32 v6, v6, 9, v3
	v_cmp_eq_u32_e32 vcc, s13, v14
	v_cndmask_b32_e32 v6, v10, v6, vcc
	v_lshrrev_b32_e32 v7, 16, v7
	v_and_or_b32 v10, v7, s16, v6
	v_and_or_b32 v6, v13, s17, v12
	v_cmp_ne_u32_e32 vcc, 0, v6
	v_cndmask_b32_e64 v6, 0, 1, vcc
	v_lshrrev_b32_e32 v7, 8, v13
	v_bfe_u32 v12, v13, 20, 11
	v_and_or_b32 v6, v7, s12, v6
	v_sub_u32_e32 v14, 0x3f1, v12
	v_or_b32_e32 v7, 0x1000, v6
	v_med3_i32 v14, v14, 0, 13
	v_lshrrev_b32_e32 v15, v14, v7
	v_lshlrev_b32_e32 v14, v14, v15
	v_cmp_ne_u32_e32 vcc, v14, v7
	v_cndmask_b32_e64 v7, 0, 1, vcc
	v_add_u32_e32 v12, 0xfffffc10, v12
	v_or_b32_e32 v7, v15, v7
	v_lshl_or_b32 v14, v12, 12, v6
	v_cmp_gt_i32_e32 vcc, 1, v12
	v_cndmask_b32_e32 v7, v14, v7, vcc
	v_and_b32_e32 v14, 7, v7
	v_cmp_lt_i32_e32 vcc, 5, v14
	v_cmp_eq_u32_e64 s[2:3], 3, v14
	v_lshrrev_b32_e32 v7, 2, v7
	s_or_b64 vcc, s[2:3], vcc
	v_addc_co_u32_e32 v7, vcc, 0, v7, vcc
	v_cmp_gt_i32_e32 vcc, 31, v12
	v_lshrrev_b32_e32 v15, 16, v11
	v_cndmask_b32_e32 v14, v3, v7, vcc
	v_mul_f16_sdwa v7, v81, v15 dst_sel:DWORD dst_unused:UNUSED_PAD src0_sel:WORD_1 src1_sel:DWORD
	v_fma_f16 v7, v81, v11, v7
	v_cvt_f32_f16_e32 v7, v7
	v_cmp_ne_u32_e32 vcc, 0, v6
	v_cndmask_b32_e64 v6, 0, 1, vcc
	v_lshl_or_b32 v16, v6, 9, v3
	v_cvt_f64_f32_e32 v[6:7], v7
	v_cmp_eq_u32_e32 vcc, s13, v12
	v_cndmask_b32_e32 v12, v14, v16, vcc
	v_lshrrev_b32_e32 v13, 16, v13
	v_mul_f64 v[6:7], v[6:7], s[6:7]
	v_add_co_u32_e32 v8, vcc, s10, v8
	v_and_or_b32 v12, v13, s16, v12
	v_and_b32_e32 v10, 0xffff, v10
	v_addc_co_u32_e32 v9, vcc, v9, v1, vcc
	v_lshl_or_b32 v10, v12, 16, v10
	v_and_or_b32 v6, v7, s17, v6
	v_cmp_ne_u32_e32 vcc, 0, v6
	global_store_dword v[8:9], v10, off
	v_cndmask_b32_e64 v6, 0, 1, vcc
	v_lshrrev_b32_e32 v10, 8, v7
	v_bfe_u32 v12, v7, 20, 11
	v_and_or_b32 v6, v10, s12, v6
	v_sub_u32_e32 v13, 0x3f1, v12
	v_or_b32_e32 v10, 0x1000, v6
	v_med3_i32 v13, v13, 0, 13
	v_lshrrev_b32_e32 v14, v13, v10
	v_lshlrev_b32_e32 v13, v13, v14
	v_mul_f16_sdwa v11, v81, v11 dst_sel:DWORD dst_unused:UNUSED_PAD src0_sel:WORD_1 src1_sel:DWORD
	v_cmp_ne_u32_e32 vcc, v13, v10
	v_fma_f16 v11, v81, v15, -v11
	v_cndmask_b32_e64 v10, 0, 1, vcc
	v_add_u32_e32 v12, 0xfffffc10, v12
	v_cvt_f32_f16_e32 v11, v11
	v_or_b32_e32 v10, v14, v10
	v_lshl_or_b32 v13, v12, 12, v6
	v_cmp_gt_i32_e32 vcc, 1, v12
	v_cndmask_b32_e32 v10, v13, v10, vcc
	v_and_b32_e32 v13, 7, v10
	v_cmp_lt_i32_e32 vcc, 5, v13
	v_cmp_eq_u32_e64 s[2:3], 3, v13
	v_lshrrev_b32_e32 v13, 2, v10
	v_cvt_f64_f32_e32 v[10:11], v11
	s_or_b64 vcc, s[2:3], vcc
	v_addc_co_u32_e32 v13, vcc, 0, v13, vcc
	v_mul_f64 v[10:11], v[10:11], s[6:7]
	v_cmp_gt_i32_e32 vcc, 31, v12
	v_cndmask_b32_e32 v13, v3, v13, vcc
	v_cmp_ne_u32_e32 vcc, 0, v6
	v_cndmask_b32_e64 v6, 0, 1, vcc
	v_lshl_or_b32 v6, v6, 9, v3
	v_cmp_eq_u32_e32 vcc, s13, v12
	v_cndmask_b32_e32 v6, v13, v6, vcc
	v_lshrrev_b32_e32 v7, 16, v7
	v_and_or_b32 v14, v7, s16, v6
	v_and_or_b32 v6, v11, s17, v10
	v_cmp_ne_u32_e32 vcc, 0, v6
	v_cndmask_b32_e64 v6, 0, 1, vcc
	v_lshrrev_b32_e32 v7, 8, v11
	v_and_or_b32 v10, v7, s12, v6
	v_bfe_u32 v7, v11, 20, 11
	v_sub_u32_e32 v12, 0x3f1, v7
	v_or_b32_e32 v6, 0x1000, v10
	v_med3_i32 v12, v12, 0, 13
	v_lshrrev_b32_e32 v13, v12, v6
	v_lshlrev_b32_e32 v12, v12, v13
	v_cmp_ne_u32_e32 vcc, v12, v6
	v_cndmask_b32_e64 v6, 0, 1, vcc
	v_add_u32_e32 v15, 0xfffffc10, v7
	v_or_b32_e32 v6, v13, v6
	v_lshl_or_b32 v7, v15, 12, v10
	v_cmp_gt_i32_e32 vcc, 1, v15
	v_cndmask_b32_e32 v6, v7, v6, vcc
	v_and_b32_e32 v7, 7, v6
	v_cmp_lt_i32_e32 vcc, 5, v7
	v_cmp_eq_u32_e64 s[2:3], 3, v7
	v_lshrrev_b32_e32 v12, 2, v6
	ds_read2_b32 v[6:7], v5 offset0:36 offset1:141
	s_or_b64 vcc, s[2:3], vcc
	v_addc_co_u32_e32 v12, vcc, 0, v12, vcc
	v_cmp_gt_i32_e32 vcc, 31, v15
	s_waitcnt lgkmcnt(0)
	v_lshrrev_b32_e32 v17, 16, v6
	v_cndmask_b32_e32 v16, v3, v12, vcc
	v_mul_f16_sdwa v12, v80, v17 dst_sel:DWORD dst_unused:UNUSED_PAD src0_sel:WORD_1 src1_sel:DWORD
	v_fma_f16 v12, v80, v6, v12
	v_cvt_f32_f16_e32 v12, v12
	v_cmp_ne_u32_e32 vcc, 0, v10
	v_cndmask_b32_e64 v10, 0, 1, vcc
	v_lshl_or_b32 v10, v10, 9, v3
	v_cvt_f64_f32_e32 v[12:13], v12
	v_cmp_eq_u32_e32 vcc, s13, v15
	v_cndmask_b32_e32 v10, v16, v10, vcc
	v_lshrrev_b32_e32 v11, 16, v11
	v_and_or_b32 v15, v11, s16, v10
	v_mul_f64 v[10:11], v[12:13], s[6:7]
	v_add_co_u32_e32 v8, vcc, s10, v8
	v_and_b32_e32 v12, 0xffff, v14
	v_addc_co_u32_e32 v9, vcc, v9, v1, vcc
	v_lshl_or_b32 v12, v15, 16, v12
	global_store_dword v[8:9], v12, off
	v_and_or_b32 v10, v11, s17, v10
	v_cmp_ne_u32_e32 vcc, 0, v10
	v_cndmask_b32_e64 v10, 0, 1, vcc
	v_lshrrev_b32_e32 v12, 8, v11
	v_bfe_u32 v13, v11, 20, 11
	v_and_or_b32 v10, v12, s12, v10
	v_sub_u32_e32 v14, 0x3f1, v13
	v_or_b32_e32 v12, 0x1000, v10
	v_med3_i32 v14, v14, 0, 13
	v_lshrrev_b32_e32 v15, v14, v12
	v_lshlrev_b32_e32 v14, v14, v15
	v_mul_f16_sdwa v6, v80, v6 dst_sel:DWORD dst_unused:UNUSED_PAD src0_sel:WORD_1 src1_sel:DWORD
	v_cmp_ne_u32_e32 vcc, v14, v12
	v_fma_f16 v6, v80, v17, -v6
	v_cndmask_b32_e64 v12, 0, 1, vcc
	v_add_u32_e32 v14, 0xfffffc10, v13
	v_cvt_f32_f16_e32 v6, v6
	v_or_b32_e32 v12, v15, v12
	v_lshl_or_b32 v13, v14, 12, v10
	v_cmp_gt_i32_e32 vcc, 1, v14
	v_cndmask_b32_e32 v12, v13, v12, vcc
	v_and_b32_e32 v13, 7, v12
	v_cmp_lt_i32_e32 vcc, 5, v13
	v_cmp_eq_u32_e64 s[2:3], 3, v13
	v_lshrrev_b32_e32 v15, 2, v12
	v_cvt_f64_f32_e32 v[12:13], v6
	s_or_b64 vcc, s[2:3], vcc
	v_addc_co_u32_e32 v6, vcc, 0, v15, vcc
	v_mul_f64 v[12:13], v[12:13], s[6:7]
	v_cmp_gt_i32_e32 vcc, 31, v14
	v_cndmask_b32_e32 v6, v3, v6, vcc
	v_cmp_ne_u32_e32 vcc, 0, v10
	v_cndmask_b32_e64 v10, 0, 1, vcc
	v_lshl_or_b32 v10, v10, 9, v3
	v_cmp_eq_u32_e32 vcc, s13, v14
	v_cndmask_b32_e32 v6, v6, v10, vcc
	v_lshrrev_b32_e32 v10, 16, v11
	v_and_or_b32 v6, v10, s16, v6
	v_and_or_b32 v10, v13, s17, v12
	v_cmp_ne_u32_e32 vcc, 0, v10
	v_cndmask_b32_e64 v10, 0, 1, vcc
	v_lshrrev_b32_e32 v11, 8, v13
	v_bfe_u32 v12, v13, 20, 11
	v_and_or_b32 v10, v11, s12, v10
	v_sub_u32_e32 v14, 0x3f1, v12
	v_or_b32_e32 v11, 0x1000, v10
	v_med3_i32 v14, v14, 0, 13
	v_lshrrev_b32_e32 v15, v14, v11
	v_lshlrev_b32_e32 v14, v14, v15
	v_cmp_ne_u32_e32 vcc, v14, v11
	v_cndmask_b32_e64 v11, 0, 1, vcc
	v_add_u32_e32 v12, 0xfffffc10, v12
	v_or_b32_e32 v11, v15, v11
	v_lshl_or_b32 v14, v12, 12, v10
	v_cmp_gt_i32_e32 vcc, 1, v12
	v_cndmask_b32_e32 v11, v14, v11, vcc
	v_and_b32_e32 v14, 7, v11
	v_cmp_lt_i32_e32 vcc, 5, v14
	v_cmp_eq_u32_e64 s[2:3], 3, v14
	v_lshrrev_b32_e32 v11, 2, v11
	s_or_b64 vcc, s[2:3], vcc
	v_addc_co_u32_e32 v11, vcc, 0, v11, vcc
	v_cmp_gt_i32_e32 vcc, 31, v12
	v_lshrrev_b32_e32 v15, 16, v7
	v_cndmask_b32_e32 v14, v3, v11, vcc
	v_mul_f16_sdwa v11, v79, v15 dst_sel:DWORD dst_unused:UNUSED_PAD src0_sel:WORD_1 src1_sel:DWORD
	v_fma_f16 v11, v79, v7, v11
	v_cvt_f32_f16_e32 v11, v11
	v_cmp_ne_u32_e32 vcc, 0, v10
	v_cndmask_b32_e64 v10, 0, 1, vcc
	v_lshl_or_b32 v16, v10, 9, v3
	v_cvt_f64_f32_e32 v[10:11], v11
	v_cmp_eq_u32_e32 vcc, s13, v12
	v_cndmask_b32_e32 v12, v14, v16, vcc
	v_lshrrev_b32_e32 v13, 16, v13
	v_mul_f64 v[10:11], v[10:11], s[6:7]
	v_and_or_b32 v12, v13, s16, v12
	v_and_b32_e32 v6, 0xffff, v6
	v_add_co_u32_e32 v8, vcc, s10, v8
	v_lshl_or_b32 v6, v12, 16, v6
	v_addc_co_u32_e32 v9, vcc, v9, v1, vcc
	global_store_dword v[8:9], v6, off
	v_and_or_b32 v6, v11, s17, v10
	v_cmp_ne_u32_e32 vcc, 0, v6
	v_cndmask_b32_e64 v6, 0, 1, vcc
	v_lshrrev_b32_e32 v10, 8, v11
	v_bfe_u32 v12, v11, 20, 11
	v_and_or_b32 v10, v10, s12, v6
	v_sub_u32_e32 v13, 0x3f1, v12
	v_or_b32_e32 v6, 0x1000, v10
	v_med3_i32 v13, v13, 0, 13
	v_lshrrev_b32_e32 v14, v13, v6
	v_lshlrev_b32_e32 v13, v13, v14
	v_mul_f16_sdwa v7, v79, v7 dst_sel:DWORD dst_unused:UNUSED_PAD src0_sel:WORD_1 src1_sel:DWORD
	v_cmp_ne_u32_e32 vcc, v13, v6
	v_fma_f16 v7, v79, v15, -v7
	v_cndmask_b32_e64 v6, 0, 1, vcc
	v_add_u32_e32 v12, 0xfffffc10, v12
	v_cvt_f32_f16_e32 v7, v7
	v_or_b32_e32 v6, v14, v6
	v_lshl_or_b32 v13, v12, 12, v10
	v_cmp_gt_i32_e32 vcc, 1, v12
	v_cndmask_b32_e32 v6, v13, v6, vcc
	v_and_b32_e32 v13, 7, v6
	v_cmp_lt_i32_e32 vcc, 5, v13
	v_cmp_eq_u32_e64 s[2:3], 3, v13
	v_lshrrev_b32_e32 v13, 2, v6
	v_cvt_f64_f32_e32 v[6:7], v7
	s_or_b64 vcc, s[2:3], vcc
	v_addc_co_u32_e32 v13, vcc, 0, v13, vcc
	v_mul_f64 v[6:7], v[6:7], s[6:7]
	v_cmp_gt_i32_e32 vcc, 31, v12
	v_cndmask_b32_e32 v13, v3, v13, vcc
	v_cmp_ne_u32_e32 vcc, 0, v10
	v_cndmask_b32_e64 v10, 0, 1, vcc
	v_lshl_or_b32 v10, v10, 9, v3
	v_cmp_eq_u32_e32 vcc, s13, v12
	v_cndmask_b32_e32 v10, v13, v10, vcc
	v_and_or_b32 v6, v7, s17, v6
	v_lshrrev_b32_e32 v11, 16, v11
	v_cmp_ne_u32_e32 vcc, 0, v6
	v_and_or_b32 v14, v11, s16, v10
	v_cndmask_b32_e64 v6, 0, 1, vcc
	v_lshrrev_b32_e32 v10, 8, v7
	v_bfe_u32 v11, v7, 20, 11
	v_and_or_b32 v6, v10, s12, v6
	v_sub_u32_e32 v12, 0x3f1, v11
	v_or_b32_e32 v10, 0x1000, v6
	v_med3_i32 v12, v12, 0, 13
	v_lshrrev_b32_e32 v13, v12, v10
	v_lshlrev_b32_e32 v12, v12, v13
	v_cmp_ne_u32_e32 vcc, v12, v10
	v_cndmask_b32_e64 v10, 0, 1, vcc
	v_add_u32_e32 v15, 0xfffffc10, v11
	v_or_b32_e32 v10, v13, v10
	v_lshl_or_b32 v11, v15, 12, v6
	v_cmp_gt_i32_e32 vcc, 1, v15
	v_cndmask_b32_e32 v10, v11, v10, vcc
	v_and_b32_e32 v11, 7, v10
	v_cmp_lt_i32_e32 vcc, 5, v11
	v_cmp_eq_u32_e64 s[2:3], 3, v11
	v_lshrrev_b32_e32 v12, 2, v10
	ds_read2_b32 v[10:11], v0 offset0:118 offset1:223
	s_or_b64 vcc, s[2:3], vcc
	v_addc_co_u32_e32 v0, vcc, 0, v12, vcc
	v_cmp_gt_i32_e32 vcc, 31, v15
	s_waitcnt lgkmcnt(0)
	v_lshrrev_b32_e32 v16, 16, v10
	v_mul_f16_sdwa v12, v78, v16 dst_sel:DWORD dst_unused:UNUSED_PAD src0_sel:WORD_1 src1_sel:DWORD
	v_fma_f16 v12, v78, v10, v12
	v_cvt_f32_f16_e32 v12, v12
	v_cndmask_b32_e32 v0, v3, v0, vcc
	v_cmp_ne_u32_e32 vcc, 0, v6
	v_cndmask_b32_e64 v6, 0, 1, vcc
	v_cvt_f64_f32_e32 v[12:13], v12
	v_lshl_or_b32 v6, v6, 9, v3
	v_cmp_eq_u32_e32 vcc, s13, v15
	v_cndmask_b32_e32 v0, v0, v6, vcc
	v_lshrrev_b32_e32 v6, 16, v7
	v_and_or_b32 v0, v6, s16, v0
	v_mul_f64 v[6:7], v[12:13], s[6:7]
	v_and_b32_e32 v12, 0xffff, v14
	v_add_co_u32_e32 v8, vcc, s10, v8
	v_lshl_or_b32 v0, v0, 16, v12
	v_addc_co_u32_e32 v9, vcc, v9, v1, vcc
	global_store_dword v[8:9], v0, off
	v_and_or_b32 v0, v7, s17, v6
	v_cmp_ne_u32_e32 vcc, 0, v0
	v_cndmask_b32_e64 v0, 0, 1, vcc
	v_lshrrev_b32_e32 v6, 8, v7
	v_bfe_u32 v12, v7, 20, 11
	v_and_or_b32 v0, v6, s12, v0
	v_sub_u32_e32 v13, 0x3f1, v12
	v_or_b32_e32 v6, 0x1000, v0
	v_med3_i32 v13, v13, 0, 13
	v_lshrrev_b32_e32 v14, v13, v6
	v_lshlrev_b32_e32 v13, v13, v14
	v_cmp_ne_u32_e32 vcc, v13, v6
	v_mul_f16_sdwa v10, v78, v10 dst_sel:DWORD dst_unused:UNUSED_PAD src0_sel:WORD_1 src1_sel:DWORD
	v_cndmask_b32_e64 v6, 0, 1, vcc
	v_fma_f16 v10, v78, v16, -v10
	v_or_b32_e32 v6, v14, v6
	v_add_u32_e32 v14, 0xfffffc10, v12
	v_cvt_f32_f16_e32 v10, v10
	v_lshl_or_b32 v12, v14, 12, v0
	v_cmp_gt_i32_e32 vcc, 1, v14
	v_cndmask_b32_e32 v6, v12, v6, vcc
	v_and_b32_e32 v12, 7, v6
	v_cmp_lt_i32_e32 vcc, 5, v12
	v_cmp_eq_u32_e64 s[2:3], 3, v12
	v_cvt_f64_f32_e32 v[12:13], v10
	v_lshrrev_b32_e32 v6, 2, v6
	s_or_b64 vcc, s[2:3], vcc
	v_addc_co_u32_e32 v6, vcc, 0, v6, vcc
	v_mul_f64 v[12:13], v[12:13], s[6:7]
	v_cmp_gt_i32_e32 vcc, 31, v14
	v_cndmask_b32_e32 v6, v3, v6, vcc
	v_cmp_ne_u32_e32 vcc, 0, v0
	v_cndmask_b32_e64 v0, 0, 1, vcc
	v_lshl_or_b32 v0, v0, 9, v3
	v_cmp_eq_u32_e32 vcc, s13, v14
	v_cndmask_b32_e32 v0, v6, v0, vcc
	v_lshrrev_b32_e32 v6, 16, v7
	v_and_or_b32 v0, v6, s16, v0
	v_and_or_b32 v6, v13, s17, v12
	v_cmp_ne_u32_e32 vcc, 0, v6
	v_cndmask_b32_e64 v6, 0, 1, vcc
	v_lshrrev_b32_e32 v7, 8, v13
	v_bfe_u32 v10, v13, 20, 11
	v_and_or_b32 v6, v7, s12, v6
	v_sub_u32_e32 v12, 0x3f1, v10
	v_or_b32_e32 v7, 0x1000, v6
	v_med3_i32 v12, v12, 0, 13
	v_lshrrev_b32_e32 v14, v12, v7
	v_lshlrev_b32_e32 v12, v12, v14
	v_cmp_ne_u32_e32 vcc, v12, v7
	v_cndmask_b32_e64 v7, 0, 1, vcc
	v_add_u32_e32 v10, 0xfffffc10, v10
	v_or_b32_e32 v7, v14, v7
	v_lshl_or_b32 v12, v10, 12, v6
	v_cmp_gt_i32_e32 vcc, 1, v10
	v_cndmask_b32_e32 v7, v12, v7, vcc
	v_and_b32_e32 v12, 7, v7
	v_cmp_lt_i32_e32 vcc, 5, v12
	v_cmp_eq_u32_e64 s[2:3], 3, v12
	v_lshrrev_b32_e32 v7, 2, v7
	s_or_b64 vcc, s[2:3], vcc
	v_addc_co_u32_e32 v7, vcc, 0, v7, vcc
	v_cmp_gt_i32_e32 vcc, 31, v10
	v_lshrrev_b32_e32 v14, 16, v11
	v_cndmask_b32_e32 v12, v3, v7, vcc
	v_mul_f16_sdwa v7, v77, v14 dst_sel:DWORD dst_unused:UNUSED_PAD src0_sel:WORD_1 src1_sel:DWORD
	v_fma_f16 v7, v77, v11, v7
	v_cvt_f32_f16_e32 v7, v7
	v_cmp_ne_u32_e32 vcc, 0, v6
	v_cndmask_b32_e64 v6, 0, 1, vcc
	v_lshl_or_b32 v15, v6, 9, v3
	v_cvt_f64_f32_e32 v[6:7], v7
	v_cmp_eq_u32_e32 vcc, s13, v10
	v_cndmask_b32_e32 v10, v12, v15, vcc
	v_lshrrev_b32_e32 v12, 16, v13
	v_mul_f64 v[6:7], v[6:7], s[6:7]
	v_and_or_b32 v10, v12, s16, v10
	v_and_b32_e32 v0, 0xffff, v0
	v_add_co_u32_e32 v8, vcc, s10, v8
	v_lshl_or_b32 v0, v10, 16, v0
	v_addc_co_u32_e32 v9, vcc, v9, v1, vcc
	global_store_dword v[8:9], v0, off
	v_and_or_b32 v0, v7, s17, v6
	v_cmp_ne_u32_e32 vcc, 0, v0
	v_cndmask_b32_e64 v0, 0, 1, vcc
	v_lshrrev_b32_e32 v6, 8, v7
	v_bfe_u32 v10, v7, 20, 11
	v_and_or_b32 v0, v6, s12, v0
	v_sub_u32_e32 v12, 0x3f1, v10
	v_or_b32_e32 v6, 0x1000, v0
	v_med3_i32 v12, v12, 0, 13
	v_lshrrev_b32_e32 v13, v12, v6
	v_lshlrev_b32_e32 v12, v12, v13
	v_mul_f16_sdwa v11, v77, v11 dst_sel:DWORD dst_unused:UNUSED_PAD src0_sel:WORD_1 src1_sel:DWORD
	v_cmp_ne_u32_e32 vcc, v12, v6
	v_fma_f16 v11, v77, v14, -v11
	v_cndmask_b32_e64 v6, 0, 1, vcc
	v_add_u32_e32 v12, 0xfffffc10, v10
	v_cvt_f32_f16_e32 v11, v11
	v_or_b32_e32 v6, v13, v6
	v_lshl_or_b32 v10, v12, 12, v0
	v_cmp_gt_i32_e32 vcc, 1, v12
	v_cndmask_b32_e32 v6, v10, v6, vcc
	v_and_b32_e32 v10, 7, v6
	v_cmp_lt_i32_e32 vcc, 5, v10
	v_cmp_eq_u32_e64 s[2:3], 3, v10
	v_cvt_f64_f32_e32 v[10:11], v11
	v_lshrrev_b32_e32 v6, 2, v6
	s_or_b64 vcc, s[2:3], vcc
	v_addc_co_u32_e32 v6, vcc, 0, v6, vcc
	v_mul_f64 v[10:11], v[10:11], s[6:7]
	v_cmp_gt_i32_e32 vcc, 31, v12
	v_cndmask_b32_e32 v6, v3, v6, vcc
	v_cmp_ne_u32_e32 vcc, 0, v0
	v_cndmask_b32_e64 v0, 0, 1, vcc
	v_lshl_or_b32 v0, v0, 9, v3
	v_cmp_eq_u32_e32 vcc, s13, v12
	v_cndmask_b32_e32 v0, v6, v0, vcc
	v_lshrrev_b32_e32 v6, 16, v7
	v_and_or_b32 v0, v6, s16, v0
	v_and_or_b32 v6, v11, s17, v10
	v_cmp_ne_u32_e32 vcc, 0, v6
	v_cndmask_b32_e64 v6, 0, 1, vcc
	v_lshrrev_b32_e32 v7, 8, v11
	v_and_or_b32 v10, v7, s12, v6
	v_bfe_u32 v7, v11, 20, 11
	v_sub_u32_e32 v12, 0x3f1, v7
	v_or_b32_e32 v6, 0x1000, v10
	v_med3_i32 v12, v12, 0, 13
	v_lshrrev_b32_e32 v13, v12, v6
	v_lshlrev_b32_e32 v12, v12, v13
	v_cmp_ne_u32_e32 vcc, v12, v6
	v_cndmask_b32_e64 v6, 0, 1, vcc
	v_add_u32_e32 v14, 0xfffffc10, v7
	v_or_b32_e32 v6, v13, v6
	v_lshl_or_b32 v7, v14, 12, v10
	v_cmp_gt_i32_e32 vcc, 1, v14
	v_cndmask_b32_e32 v6, v7, v6, vcc
	v_and_b32_e32 v7, 7, v6
	v_cmp_lt_i32_e32 vcc, 5, v7
	v_cmp_eq_u32_e64 s[2:3], 3, v7
	v_lshrrev_b32_e32 v12, 2, v6
	ds_read2_b32 v[6:7], v2 offset0:72 offset1:177
	s_or_b64 vcc, s[2:3], vcc
	v_addc_co_u32_e32 v12, vcc, 0, v12, vcc
	v_cmp_gt_i32_e32 vcc, 31, v14
	s_waitcnt lgkmcnt(0)
	v_lshrrev_b32_e32 v16, 16, v6
	v_cndmask_b32_e32 v15, v3, v12, vcc
	v_mul_f16_sdwa v12, v76, v16 dst_sel:DWORD dst_unused:UNUSED_PAD src0_sel:WORD_1 src1_sel:DWORD
	v_fma_f16 v12, v76, v6, v12
	v_cvt_f32_f16_e32 v12, v12
	v_cmp_ne_u32_e32 vcc, 0, v10
	v_cndmask_b32_e64 v10, 0, 1, vcc
	v_lshl_or_b32 v10, v10, 9, v3
	v_cvt_f64_f32_e32 v[12:13], v12
	v_cmp_eq_u32_e32 vcc, s13, v14
	v_cndmask_b32_e32 v10, v15, v10, vcc
	v_lshrrev_b32_e32 v11, 16, v11
	v_and_or_b32 v14, v11, s16, v10
	v_mul_f64 v[10:11], v[12:13], s[6:7]
	v_and_b32_e32 v0, 0xffff, v0
	v_add_co_u32_e32 v8, vcc, s10, v8
	v_lshl_or_b32 v0, v14, 16, v0
	v_addc_co_u32_e32 v9, vcc, v9, v1, vcc
	global_store_dword v[8:9], v0, off
	v_and_or_b32 v0, v11, s17, v10
	v_cmp_ne_u32_e32 vcc, 0, v0
	v_cndmask_b32_e64 v0, 0, 1, vcc
	v_lshrrev_b32_e32 v10, 8, v11
	v_bfe_u32 v12, v11, 20, 11
	v_and_or_b32 v0, v10, s12, v0
	v_sub_u32_e32 v13, 0x3f1, v12
	v_or_b32_e32 v10, 0x1000, v0
	v_med3_i32 v13, v13, 0, 13
	v_lshrrev_b32_e32 v14, v13, v10
	v_lshlrev_b32_e32 v13, v13, v14
	v_cmp_ne_u32_e32 vcc, v13, v10
	v_mul_f16_sdwa v6, v76, v6 dst_sel:DWORD dst_unused:UNUSED_PAD src0_sel:WORD_1 src1_sel:DWORD
	v_cndmask_b32_e64 v10, 0, 1, vcc
	v_fma_f16 v6, v76, v16, -v6
	v_or_b32_e32 v10, v14, v10
	v_add_u32_e32 v14, 0xfffffc10, v12
	v_cvt_f32_f16_e32 v6, v6
	v_lshl_or_b32 v12, v14, 12, v0
	v_cmp_gt_i32_e32 vcc, 1, v14
	v_cndmask_b32_e32 v10, v12, v10, vcc
	v_and_b32_e32 v12, 7, v10
	v_cmp_lt_i32_e32 vcc, 5, v12
	v_cmp_eq_u32_e64 s[2:3], 3, v12
	v_cvt_f64_f32_e32 v[12:13], v6
	v_lshrrev_b32_e32 v10, 2, v10
	s_or_b64 vcc, s[2:3], vcc
	v_addc_co_u32_e32 v6, vcc, 0, v10, vcc
	v_mul_f64 v[12:13], v[12:13], s[6:7]
	v_cmp_gt_i32_e32 vcc, 31, v14
	v_cndmask_b32_e32 v6, v3, v6, vcc
	v_cmp_ne_u32_e32 vcc, 0, v0
	v_cndmask_b32_e64 v0, 0, 1, vcc
	v_lshl_or_b32 v0, v0, 9, v3
	v_cmp_eq_u32_e32 vcc, s13, v14
	v_cndmask_b32_e32 v0, v6, v0, vcc
	v_lshrrev_b32_e32 v6, 16, v11
	v_and_or_b32 v0, v6, s16, v0
	v_and_or_b32 v6, v13, s17, v12
	v_cmp_ne_u32_e32 vcc, 0, v6
	v_cndmask_b32_e64 v6, 0, 1, vcc
	v_lshrrev_b32_e32 v10, 8, v13
	v_bfe_u32 v11, v13, 20, 11
	v_and_or_b32 v6, v10, s12, v6
	v_sub_u32_e32 v12, 0x3f1, v11
	v_or_b32_e32 v10, 0x1000, v6
	v_med3_i32 v12, v12, 0, 13
	v_lshrrev_b32_e32 v14, v12, v10
	v_lshlrev_b32_e32 v12, v12, v14
	v_cmp_ne_u32_e32 vcc, v12, v10
	v_cndmask_b32_e64 v10, 0, 1, vcc
	v_add_u32_e32 v12, 0xfffffc10, v11
	v_or_b32_e32 v10, v14, v10
	v_lshl_or_b32 v11, v12, 12, v6
	v_cmp_gt_i32_e32 vcc, 1, v12
	v_cndmask_b32_e32 v10, v11, v10, vcc
	v_and_b32_e32 v11, 7, v10
	v_cmp_lt_i32_e32 vcc, 5, v11
	v_cmp_eq_u32_e64 s[2:3], 3, v11
	v_lshrrev_b32_e32 v10, 2, v10
	s_or_b64 vcc, s[2:3], vcc
	v_addc_co_u32_e32 v10, vcc, 0, v10, vcc
	v_cmp_gt_i32_e32 vcc, 31, v12
	v_lshrrev_b32_e32 v15, 16, v7
	v_cndmask_b32_e32 v14, v3, v10, vcc
	v_mul_f16_sdwa v10, v75, v15 dst_sel:DWORD dst_unused:UNUSED_PAD src0_sel:WORD_1 src1_sel:DWORD
	v_fma_f16 v10, v75, v7, v10
	v_cvt_f32_f16_e32 v10, v10
	v_cmp_ne_u32_e32 vcc, 0, v6
	v_cndmask_b32_e64 v6, 0, 1, vcc
	v_lshl_or_b32 v6, v6, 9, v3
	v_cvt_f64_f32_e32 v[10:11], v10
	v_cmp_eq_u32_e32 vcc, s13, v12
	v_cndmask_b32_e32 v6, v14, v6, vcc
	v_lshrrev_b32_e32 v12, 16, v13
	v_mul_f64 v[10:11], v[10:11], s[6:7]
	v_and_or_b32 v6, v12, s16, v6
	v_and_b32_e32 v0, 0xffff, v0
	v_add_co_u32_e32 v8, vcc, s10, v8
	v_lshl_or_b32 v0, v6, 16, v0
	v_addc_co_u32_e32 v9, vcc, v9, v1, vcc
	global_store_dword v[8:9], v0, off
	v_and_or_b32 v0, v11, s17, v10
	v_cmp_ne_u32_e32 vcc, 0, v0
	v_cndmask_b32_e64 v0, 0, 1, vcc
	v_lshrrev_b32_e32 v6, 8, v11
	v_bfe_u32 v10, v11, 20, 11
	v_and_or_b32 v0, v6, s12, v0
	v_sub_u32_e32 v12, 0x3f1, v10
	v_or_b32_e32 v6, 0x1000, v0
	v_med3_i32 v12, v12, 0, 13
	v_lshrrev_b32_e32 v13, v12, v6
	v_lshlrev_b32_e32 v12, v12, v13
	v_mul_f16_sdwa v7, v75, v7 dst_sel:DWORD dst_unused:UNUSED_PAD src0_sel:WORD_1 src1_sel:DWORD
	v_cmp_ne_u32_e32 vcc, v12, v6
	v_fma_f16 v7, v75, v15, -v7
	v_cndmask_b32_e64 v6, 0, 1, vcc
	v_add_u32_e32 v10, 0xfffffc10, v10
	v_cvt_f32_f16_e32 v7, v7
	v_or_b32_e32 v6, v13, v6
	v_lshl_or_b32 v12, v10, 12, v0
	v_cmp_gt_i32_e32 vcc, 1, v10
	v_cndmask_b32_e32 v6, v12, v6, vcc
	v_and_b32_e32 v12, 7, v6
	v_cmp_lt_i32_e32 vcc, 5, v12
	v_cmp_eq_u32_e64 s[2:3], 3, v12
	v_lshrrev_b32_e32 v12, 2, v6
	v_cvt_f64_f32_e32 v[6:7], v7
	s_or_b64 vcc, s[2:3], vcc
	v_addc_co_u32_e32 v12, vcc, 0, v12, vcc
	v_mul_f64 v[6:7], v[6:7], s[6:7]
	v_cmp_gt_i32_e32 vcc, 31, v10
	v_cndmask_b32_e32 v12, v3, v12, vcc
	v_cmp_ne_u32_e32 vcc, 0, v0
	v_cndmask_b32_e64 v0, 0, 1, vcc
	v_lshl_or_b32 v0, v0, 9, v3
	v_cmp_eq_u32_e32 vcc, s13, v10
	v_cndmask_b32_e32 v0, v12, v0, vcc
	v_and_or_b32 v6, v7, s17, v6
	v_lshrrev_b32_e32 v10, 16, v11
	v_cmp_ne_u32_e32 vcc, 0, v6
	v_and_or_b32 v0, v10, s16, v0
	v_cndmask_b32_e64 v6, 0, 1, vcc
	v_lshrrev_b32_e32 v10, 8, v7
	v_bfe_u32 v11, v7, 20, 11
	v_and_or_b32 v6, v10, s12, v6
	v_sub_u32_e32 v12, 0x3f1, v11
	v_or_b32_e32 v10, 0x1000, v6
	v_med3_i32 v12, v12, 0, 13
	v_lshrrev_b32_e32 v13, v12, v10
	v_lshlrev_b32_e32 v12, v12, v13
	v_cmp_ne_u32_e32 vcc, v12, v10
	v_cndmask_b32_e64 v10, 0, 1, vcc
	v_add_u32_e32 v12, 0xfffffc10, v11
	v_or_b32_e32 v10, v13, v10
	v_lshl_or_b32 v11, v12, 12, v6
	v_cmp_gt_i32_e32 vcc, 1, v12
	v_cndmask_b32_e32 v10, v11, v10, vcc
	ds_read_b32 v13, v73 offset:4200
	v_and_b32_e32 v11, 7, v10
	v_cmp_lt_i32_e32 vcc, 5, v11
	v_cmp_eq_u32_e64 s[2:3], 3, v11
	v_lshrrev_b32_e32 v10, 2, v10
	s_or_b64 vcc, s[2:3], vcc
	v_addc_co_u32_e32 v10, vcc, 0, v10, vcc
	v_cmp_gt_i32_e32 vcc, 31, v12
	s_waitcnt lgkmcnt(0)
	v_lshrrev_b32_e32 v15, 16, v13
	v_cndmask_b32_e32 v14, v3, v10, vcc
	v_mul_f16_sdwa v10, v74, v15 dst_sel:DWORD dst_unused:UNUSED_PAD src0_sel:WORD_1 src1_sel:DWORD
	v_fma_f16 v10, v74, v13, v10
	v_cvt_f32_f16_e32 v10, v10
	v_cmp_ne_u32_e32 vcc, 0, v6
	v_cndmask_b32_e64 v6, 0, 1, vcc
	v_lshl_or_b32 v6, v6, 9, v3
	v_cvt_f64_f32_e32 v[10:11], v10
	v_cmp_eq_u32_e32 vcc, s13, v12
	v_cndmask_b32_e32 v6, v14, v6, vcc
	v_lshrrev_b32_e32 v7, 16, v7
	v_and_or_b32 v12, v7, s16, v6
	v_mul_f64 v[6:7], v[10:11], s[6:7]
	v_and_b32_e32 v0, 0xffff, v0
	v_add_co_u32_e32 v8, vcc, s10, v8
	v_lshl_or_b32 v0, v12, 16, v0
	v_addc_co_u32_e32 v9, vcc, v9, v1, vcc
	global_store_dword v[8:9], v0, off
	v_and_or_b32 v0, v7, s17, v6
	v_cmp_ne_u32_e32 vcc, 0, v0
	v_cndmask_b32_e64 v0, 0, 1, vcc
	v_lshrrev_b32_e32 v6, 8, v7
	v_bfe_u32 v10, v7, 20, 11
	v_and_or_b32 v0, v6, s12, v0
	v_sub_u32_e32 v11, 0x3f1, v10
	v_or_b32_e32 v6, 0x1000, v0
	v_med3_i32 v11, v11, 0, 13
	v_lshrrev_b32_e32 v12, v11, v6
	v_lshlrev_b32_e32 v11, v11, v12
	v_cmp_ne_u32_e32 vcc, v11, v6
	v_mul_f16_sdwa v11, v74, v13 dst_sel:DWORD dst_unused:UNUSED_PAD src0_sel:WORD_1 src1_sel:DWORD
	v_cndmask_b32_e64 v6, 0, 1, vcc
	v_fma_f16 v11, v74, v15, -v11
	v_or_b32_e32 v6, v12, v6
	v_add_u32_e32 v12, 0xfffffc10, v10
	v_cvt_f32_f16_e32 v11, v11
	v_lshl_or_b32 v10, v12, 12, v0
	v_cmp_gt_i32_e32 vcc, 1, v12
	v_cndmask_b32_e32 v6, v10, v6, vcc
	v_and_b32_e32 v10, 7, v6
	v_cmp_lt_i32_e32 vcc, 5, v10
	v_cmp_eq_u32_e64 s[2:3], 3, v10
	v_cvt_f64_f32_e32 v[10:11], v11
	v_lshrrev_b32_e32 v6, 2, v6
	s_or_b64 vcc, s[2:3], vcc
	v_addc_co_u32_e32 v6, vcc, 0, v6, vcc
	v_mul_f64 v[10:11], v[10:11], s[6:7]
	v_cmp_gt_i32_e32 vcc, 31, v12
	v_cndmask_b32_e32 v6, v3, v6, vcc
	v_cmp_ne_u32_e32 vcc, 0, v0
	v_cndmask_b32_e64 v0, 0, 1, vcc
	v_lshl_or_b32 v0, v0, 9, v3
	v_cmp_eq_u32_e32 vcc, s13, v12
	v_cndmask_b32_e32 v0, v6, v0, vcc
	v_lshrrev_b32_e32 v6, 16, v7
	v_and_or_b32 v0, v6, s16, v0
	v_and_or_b32 v6, v11, s17, v10
	v_cmp_ne_u32_e32 vcc, 0, v6
	v_cndmask_b32_e64 v6, 0, 1, vcc
	v_lshrrev_b32_e32 v7, 8, v11
	v_bfe_u32 v10, v11, 20, 11
	v_and_or_b32 v6, v7, s12, v6
	v_sub_u32_e32 v12, 0x3f1, v10
	v_or_b32_e32 v7, 0x1000, v6
	v_med3_i32 v12, v12, 0, 13
	v_lshrrev_b32_e32 v13, v12, v7
	v_lshlrev_b32_e32 v12, v12, v13
	v_cmp_ne_u32_e32 vcc, v12, v7
	v_cndmask_b32_e64 v7, 0, 1, vcc
	v_add_u32_e32 v10, 0xfffffc10, v10
	v_or_b32_e32 v7, v13, v7
	v_lshl_or_b32 v12, v10, 12, v6
	v_cmp_gt_i32_e32 vcc, 1, v10
	v_cndmask_b32_e32 v7, v12, v7, vcc
	v_and_b32_e32 v12, 7, v7
	v_cmp_lt_i32_e32 vcc, 5, v12
	v_cmp_eq_u32_e64 s[2:3], 3, v12
	v_lshrrev_b32_e32 v7, 2, v7
	s_or_b64 vcc, s[2:3], vcc
	v_addc_co_u32_e32 v7, vcc, 0, v7, vcc
	v_cmp_gt_i32_e32 vcc, 31, v10
	v_cndmask_b32_e32 v7, v3, v7, vcc
	v_cmp_ne_u32_e32 vcc, 0, v6
	v_cndmask_b32_e64 v6, 0, 1, vcc
	v_lshl_or_b32 v6, v6, 9, v3
	v_cmp_eq_u32_e32 vcc, s13, v10
	v_cndmask_b32_e32 v6, v7, v6, vcc
	v_lshrrev_b32_e32 v7, 16, v11
	v_and_or_b32 v6, v7, s16, v6
	v_and_b32_e32 v0, 0xffff, v0
	v_lshl_or_b32 v6, v6, 16, v0
	v_add_co_u32_e32 v0, vcc, s10, v8
	v_addc_co_u32_e32 v1, vcc, v9, v1, vcc
	global_store_dword v[0:1], v6, off
	s_and_b64 exec, exec, s[0:1]
	s_cbranch_execz .LBB0_23
; %bb.22:
	global_load_dword v8, v[28:29], off offset:220
	ds_read2_b32 v[6:7], v73 offset0:55 offset1:160
	s_waitcnt lgkmcnt(0)
	v_lshrrev_b32_e32 v9, 16, v6
	s_waitcnt vmcnt(0)
	v_mul_f16_sdwa v10, v9, v8 dst_sel:DWORD dst_unused:UNUSED_PAD src0_sel:DWORD src1_sel:WORD_1
	v_fma_f16 v10, v6, v8, v10
	v_mul_f16_sdwa v6, v6, v8 dst_sel:DWORD dst_unused:UNUSED_PAD src0_sel:DWORD src1_sel:WORD_1
	v_cvt_f32_f16_e32 v10, v10
	v_fma_f16 v6, v8, v9, -v6
	v_cvt_f32_f16_e32 v6, v6
	v_cvt_f64_f32_e32 v[8:9], v10
	v_cvt_f64_f32_e32 v[10:11], v6
	v_mov_b32_e32 v6, 0xfffff074
	v_mul_f64 v[8:9], v[8:9], s[6:7]
	v_mad_u64_u32 v[12:13], s[0:1], s8, v6, v[0:1]
	v_mul_f64 v[0:1], v[10:11], s[6:7]
	s_mul_i32 s0, s9, 0xfffff074
	s_sub_i32 s0, s0, s8
	v_add_u32_e32 v13, s0, v13
	v_and_or_b32 v6, v9, s17, v8
	v_cmp_ne_u32_e32 vcc, 0, v6
	v_lshrrev_b32_e32 v8, 8, v9
	v_and_or_b32 v0, v1, s17, v0
	v_bfe_u32 v10, v9, 20, 11
	v_cndmask_b32_e64 v6, 0, 1, vcc
	v_cmp_ne_u32_e32 vcc, 0, v0
	v_lshrrev_b32_e32 v11, 8, v1
	v_bfe_u32 v14, v1, 20, 11
	v_sub_u32_e32 v15, 0x3f1, v10
	v_cndmask_b32_e64 v0, 0, 1, vcc
	v_and_or_b32 v6, v8, s12, v6
	v_sub_u32_e32 v16, 0x3f1, v14
	v_med3_i32 v8, v15, 0, 13
	v_and_or_b32 v0, v11, s12, v0
	v_or_b32_e32 v15, 0x1000, v6
	v_add_u32_e32 v10, 0xfffffc10, v10
	v_med3_i32 v11, v16, 0, 13
	v_cmp_ne_u32_e32 vcc, 0, v6
	v_or_b32_e32 v17, 0x1000, v0
	v_lshrrev_b32_e32 v19, v8, v15
	v_add_u32_e32 v14, 0xfffffc10, v14
	v_lshl_or_b32 v16, v10, 12, v6
	v_cndmask_b32_e64 v6, 0, 1, vcc
	v_cmp_ne_u32_e32 vcc, 0, v0
	v_lshrrev_b32_e32 v20, v11, v17
	v_lshlrev_b32_e32 v8, v8, v19
	v_lshl_or_b32 v18, v14, 12, v0
	v_cndmask_b32_e64 v0, 0, 1, vcc
	v_lshlrev_b32_e32 v11, v11, v20
	v_cmp_ne_u32_e32 vcc, v8, v15
	v_cndmask_b32_e64 v8, 0, 1, vcc
	v_cmp_ne_u32_e32 vcc, v11, v17
	v_cndmask_b32_e64 v11, 0, 1, vcc
	v_or_b32_e32 v8, v19, v8
	v_cmp_gt_i32_e32 vcc, 1, v10
	v_cndmask_b32_e32 v8, v16, v8, vcc
	v_or_b32_e32 v11, v20, v11
	v_cmp_gt_i32_e32 vcc, 1, v14
	v_and_b32_e32 v15, 7, v8
	v_cndmask_b32_e32 v11, v18, v11, vcc
	v_cmp_lt_i32_e32 vcc, 5, v15
	v_cmp_eq_u32_e64 s[0:1], 3, v15
	v_lshrrev_b32_e32 v8, 2, v8
	v_and_b32_e32 v16, 7, v11
	s_or_b64 vcc, s[0:1], vcc
	v_cmp_lt_i32_e64 s[2:3], 5, v16
	v_cmp_eq_u32_e64 s[4:5], 3, v16
	v_addc_co_u32_e32 v8, vcc, 0, v8, vcc
	v_lshrrev_b32_e32 v11, 2, v11
	s_or_b64 vcc, s[4:5], s[2:3]
	v_addc_co_u32_e32 v11, vcc, 0, v11, vcc
	v_cmp_gt_i32_e32 vcc, 31, v10
	v_cndmask_b32_e32 v8, v3, v8, vcc
	v_cmp_gt_i32_e32 vcc, 31, v14
	v_lshl_or_b32 v6, v6, 9, v3
	v_cndmask_b32_e32 v11, v3, v11, vcc
	v_cmp_eq_u32_e32 vcc, s13, v10
	v_lshrrev_b32_e32 v9, 16, v9
	v_lshl_or_b32 v0, v0, 9, v3
	v_cndmask_b32_e32 v6, v8, v6, vcc
	v_cmp_eq_u32_e32 vcc, s13, v14
	v_lshrrev_b32_e32 v1, 16, v1
	v_cndmask_b32_e32 v0, v11, v0, vcc
	v_and_or_b32 v6, v9, s16, v6
	v_and_or_b32 v0, v1, s16, v0
	v_and_b32_e32 v1, 0xffff, v6
	v_lshl_or_b32 v0, v0, 16, v1
	global_store_dword v[12:13], v0, off
	global_load_dword v0, v[28:29], off offset:640
	v_lshrrev_b32_e32 v1, 16, v7
	v_add_co_u32_e32 v10, vcc, s10, v12
	s_waitcnt vmcnt(0)
	v_mul_f16_sdwa v6, v1, v0 dst_sel:DWORD dst_unused:UNUSED_PAD src0_sel:DWORD src1_sel:WORD_1
	v_fma_f16 v6, v7, v0, v6
	v_mul_f16_sdwa v7, v7, v0 dst_sel:DWORD dst_unused:UNUSED_PAD src0_sel:DWORD src1_sel:WORD_1
	v_cvt_f32_f16_e32 v6, v6
	v_fma_f16 v0, v0, v1, -v7
	v_cvt_f32_f16_e32 v7, v0
	v_cvt_f64_f32_e32 v[0:1], v6
	v_cvt_f64_f32_e32 v[6:7], v7
	v_mul_f64 v[8:9], v[0:1], s[6:7]
	v_mov_b32_e32 v0, s11
	v_mul_f64 v[6:7], v[6:7], s[6:7]
	v_addc_co_u32_e32 v11, vcc, v13, v0, vcc
	v_and_or_b32 v1, v9, s17, v8
	v_cmp_ne_u32_e32 vcc, 0, v1
	v_and_or_b32 v6, v7, s17, v6
	v_lshrrev_b32_e32 v8, 8, v9
	v_bfe_u32 v12, v9, 20, 11
	v_cndmask_b32_e64 v1, 0, 1, vcc
	v_cmp_ne_u32_e32 vcc, 0, v6
	v_lshrrev_b32_e32 v13, 8, v7
	v_bfe_u32 v14, v7, 20, 11
	v_sub_u32_e32 v15, 0x3f1, v12
	v_cndmask_b32_e64 v6, 0, 1, vcc
	v_and_or_b32 v1, v8, s12, v1
	v_sub_u32_e32 v16, 0x3f1, v14
	v_med3_i32 v8, v15, 0, 13
	v_and_or_b32 v6, v13, s12, v6
	v_or_b32_e32 v15, 0x1000, v1
	v_add_u32_e32 v12, 0xfffffc10, v12
	v_med3_i32 v13, v16, 0, 13
	v_cmp_ne_u32_e32 vcc, 0, v1
	v_or_b32_e32 v17, 0x1000, v6
	v_lshrrev_b32_e32 v19, v8, v15
	v_add_u32_e32 v14, 0xfffffc10, v14
	v_lshl_or_b32 v16, v12, 12, v1
	v_cndmask_b32_e64 v1, 0, 1, vcc
	v_cmp_ne_u32_e32 vcc, 0, v6
	v_lshrrev_b32_e32 v20, v13, v17
	v_lshlrev_b32_e32 v8, v8, v19
	v_lshl_or_b32 v18, v14, 12, v6
	v_cndmask_b32_e64 v6, 0, 1, vcc
	v_lshlrev_b32_e32 v13, v13, v20
	v_cmp_ne_u32_e32 vcc, v8, v15
	v_cndmask_b32_e64 v8, 0, 1, vcc
	v_cmp_ne_u32_e32 vcc, v13, v17
	v_cndmask_b32_e64 v13, 0, 1, vcc
	v_or_b32_e32 v8, v19, v8
	v_cmp_gt_i32_e32 vcc, 1, v12
	v_cndmask_b32_e32 v8, v16, v8, vcc
	v_or_b32_e32 v13, v20, v13
	v_cmp_gt_i32_e32 vcc, 1, v14
	v_and_b32_e32 v15, 7, v8
	v_cndmask_b32_e32 v13, v18, v13, vcc
	v_cmp_lt_i32_e32 vcc, 5, v15
	v_cmp_eq_u32_e64 s[0:1], 3, v15
	v_lshrrev_b32_e32 v8, 2, v8
	v_and_b32_e32 v16, 7, v13
	s_or_b64 vcc, s[0:1], vcc
	v_cmp_lt_i32_e64 s[2:3], 5, v16
	v_cmp_eq_u32_e64 s[4:5], 3, v16
	v_addc_co_u32_e32 v8, vcc, 0, v8, vcc
	v_lshrrev_b32_e32 v13, 2, v13
	s_or_b64 vcc, s[4:5], s[2:3]
	v_addc_co_u32_e32 v13, vcc, 0, v13, vcc
	v_cmp_gt_i32_e32 vcc, 31, v12
	v_cndmask_b32_e32 v8, v3, v8, vcc
	v_cmp_gt_i32_e32 vcc, 31, v14
	v_lshl_or_b32 v1, v1, 9, v3
	v_cndmask_b32_e32 v13, v3, v13, vcc
	v_cmp_eq_u32_e32 vcc, s13, v12
	v_lshrrev_b32_e32 v9, 16, v9
	v_lshl_or_b32 v6, v6, 9, v3
	v_cndmask_b32_e32 v1, v8, v1, vcc
	v_cmp_eq_u32_e32 vcc, s13, v14
	v_lshrrev_b32_e32 v7, 16, v7
	v_cndmask_b32_e32 v6, v13, v6, vcc
	v_and_or_b32 v1, v9, s16, v1
	v_and_or_b32 v6, v7, s16, v6
	v_and_b32_e32 v1, 0xffff, v1
	v_lshl_or_b32 v1, v6, 16, v1
	global_store_dword v[10:11], v1, off
	global_load_dword v1, v[28:29], off offset:1060
	ds_read2_b32 v[6:7], v4 offset0:9 offset1:114
	v_add_co_u32_e32 v10, vcc, s10, v10
	v_addc_co_u32_e32 v11, vcc, v11, v0, vcc
	s_waitcnt lgkmcnt(0)
	v_lshrrev_b32_e32 v4, 16, v6
	s_waitcnt vmcnt(0)
	v_mul_f16_sdwa v8, v4, v1 dst_sel:DWORD dst_unused:UNUSED_PAD src0_sel:DWORD src1_sel:WORD_1
	v_fma_f16 v8, v6, v1, v8
	v_mul_f16_sdwa v6, v6, v1 dst_sel:DWORD dst_unused:UNUSED_PAD src0_sel:DWORD src1_sel:WORD_1
	v_cvt_f32_f16_e32 v8, v8
	v_fma_f16 v1, v1, v4, -v6
	v_cvt_f32_f16_e32 v1, v1
	v_cvt_f64_f32_e32 v[8:9], v8
	v_cvt_f64_f32_e32 v[12:13], v1
	v_mul_f64 v[8:9], v[8:9], s[6:7]
	v_mul_f64 v[12:13], v[12:13], s[6:7]
	v_and_or_b32 v1, v9, s17, v8
	v_lshrrev_b32_e32 v4, 8, v9
	v_bfe_u32 v6, v9, 20, 11
	v_lshrrev_b32_e32 v8, 16, v9
	v_and_or_b32 v9, v13, s17, v12
	v_cmp_ne_u32_e32 vcc, 0, v1
	v_cndmask_b32_e64 v1, 0, 1, vcc
	v_cmp_ne_u32_e32 vcc, 0, v9
	v_lshrrev_b32_e32 v12, 8, v13
	v_bfe_u32 v14, v13, 20, 11
	v_sub_u32_e32 v15, 0x3f1, v6
	v_cndmask_b32_e64 v9, 0, 1, vcc
	v_and_or_b32 v1, v4, s12, v1
	v_sub_u32_e32 v16, 0x3f1, v14
	v_med3_i32 v4, v15, 0, 13
	v_and_or_b32 v9, v12, s12, v9
	v_or_b32_e32 v15, 0x1000, v1
	v_add_u32_e32 v6, 0xfffffc10, v6
	v_med3_i32 v12, v16, 0, 13
	v_cmp_ne_u32_e32 vcc, 0, v1
	v_or_b32_e32 v17, 0x1000, v9
	v_lshrrev_b32_e32 v19, v4, v15
	v_add_u32_e32 v14, 0xfffffc10, v14
	v_lshl_or_b32 v16, v6, 12, v1
	v_cndmask_b32_e64 v1, 0, 1, vcc
	v_cmp_ne_u32_e32 vcc, 0, v9
	v_lshrrev_b32_e32 v20, v12, v17
	v_lshlrev_b32_e32 v4, v4, v19
	v_lshl_or_b32 v18, v14, 12, v9
	v_cndmask_b32_e64 v9, 0, 1, vcc
	v_lshlrev_b32_e32 v12, v12, v20
	v_cmp_ne_u32_e32 vcc, v4, v15
	v_cndmask_b32_e64 v4, 0, 1, vcc
	v_cmp_ne_u32_e32 vcc, v12, v17
	v_cndmask_b32_e64 v12, 0, 1, vcc
	v_or_b32_e32 v4, v19, v4
	v_cmp_gt_i32_e32 vcc, 1, v6
	v_cndmask_b32_e32 v4, v16, v4, vcc
	v_or_b32_e32 v12, v20, v12
	v_cmp_gt_i32_e32 vcc, 1, v14
	v_and_b32_e32 v15, 7, v4
	v_cndmask_b32_e32 v12, v18, v12, vcc
	v_cmp_lt_i32_e32 vcc, 5, v15
	v_cmp_eq_u32_e64 s[0:1], 3, v15
	v_lshrrev_b32_e32 v4, 2, v4
	v_and_b32_e32 v16, 7, v12
	s_or_b64 vcc, s[0:1], vcc
	v_cmp_lt_i32_e64 s[2:3], 5, v16
	v_cmp_eq_u32_e64 s[4:5], 3, v16
	v_addc_co_u32_e32 v4, vcc, 0, v4, vcc
	v_lshrrev_b32_e32 v12, 2, v12
	s_or_b64 vcc, s[4:5], s[2:3]
	v_addc_co_u32_e32 v12, vcc, 0, v12, vcc
	v_cmp_gt_i32_e32 vcc, 31, v6
	v_cndmask_b32_e32 v4, v3, v4, vcc
	v_cmp_gt_i32_e32 vcc, 31, v14
	v_lshl_or_b32 v1, v1, 9, v3
	v_cndmask_b32_e32 v12, v3, v12, vcc
	v_cmp_eq_u32_e32 vcc, s13, v6
	v_lshl_or_b32 v9, v9, 9, v3
	v_cndmask_b32_e32 v1, v4, v1, vcc
	v_cmp_eq_u32_e32 vcc, s13, v14
	v_lshrrev_b32_e32 v13, 16, v13
	v_cndmask_b32_e32 v4, v12, v9, vcc
	v_and_or_b32 v1, v8, s16, v1
	v_and_or_b32 v4, v13, s16, v4
	v_and_b32_e32 v1, 0xffff, v1
	v_lshl_or_b32 v1, v4, 16, v1
	global_store_dword v[10:11], v1, off
	global_load_dword v1, v[28:29], off offset:1480
	v_lshrrev_b32_e32 v4, 16, v7
	v_add_co_u32_e32 v10, vcc, s10, v10
	v_addc_co_u32_e32 v11, vcc, v11, v0, vcc
	s_waitcnt vmcnt(0)
	v_mul_f16_sdwa v6, v4, v1 dst_sel:DWORD dst_unused:UNUSED_PAD src0_sel:DWORD src1_sel:WORD_1
	v_fma_f16 v6, v7, v1, v6
	v_mul_f16_sdwa v7, v7, v1 dst_sel:DWORD dst_unused:UNUSED_PAD src0_sel:DWORD src1_sel:WORD_1
	v_cvt_f32_f16_e32 v6, v6
	v_fma_f16 v1, v1, v4, -v7
	v_cvt_f32_f16_e32 v1, v1
	v_cvt_f64_f32_e32 v[6:7], v6
	v_cvt_f64_f32_e32 v[8:9], v1
	v_mul_f64 v[6:7], v[6:7], s[6:7]
	v_mul_f64 v[8:9], v[8:9], s[6:7]
	v_and_or_b32 v1, v7, s17, v6
	v_cmp_ne_u32_e32 vcc, 0, v1
	v_and_or_b32 v8, v9, s17, v8
	v_lshrrev_b32_e32 v4, 8, v7
	v_bfe_u32 v6, v7, 20, 11
	v_cndmask_b32_e64 v1, 0, 1, vcc
	v_cmp_ne_u32_e32 vcc, 0, v8
	v_lshrrev_b32_e32 v12, 8, v9
	v_bfe_u32 v13, v9, 20, 11
	v_sub_u32_e32 v14, 0x3f1, v6
	v_cndmask_b32_e64 v8, 0, 1, vcc
	v_and_or_b32 v1, v4, s12, v1
	v_sub_u32_e32 v15, 0x3f1, v13
	v_med3_i32 v4, v14, 0, 13
	v_and_or_b32 v8, v12, s12, v8
	v_or_b32_e32 v14, 0x1000, v1
	v_add_u32_e32 v6, 0xfffffc10, v6
	v_med3_i32 v12, v15, 0, 13
	v_cmp_ne_u32_e32 vcc, 0, v1
	v_or_b32_e32 v16, 0x1000, v8
	v_lshrrev_b32_e32 v18, v4, v14
	v_add_u32_e32 v13, 0xfffffc10, v13
	v_lshl_or_b32 v15, v6, 12, v1
	v_cndmask_b32_e64 v1, 0, 1, vcc
	v_cmp_ne_u32_e32 vcc, 0, v8
	v_lshrrev_b32_e32 v19, v12, v16
	v_lshlrev_b32_e32 v4, v4, v18
	v_lshl_or_b32 v17, v13, 12, v8
	v_cndmask_b32_e64 v8, 0, 1, vcc
	v_lshlrev_b32_e32 v12, v12, v19
	v_cmp_ne_u32_e32 vcc, v4, v14
	v_cndmask_b32_e64 v4, 0, 1, vcc
	v_cmp_ne_u32_e32 vcc, v12, v16
	v_cndmask_b32_e64 v12, 0, 1, vcc
	v_or_b32_e32 v4, v18, v4
	v_cmp_gt_i32_e32 vcc, 1, v6
	v_cndmask_b32_e32 v4, v15, v4, vcc
	v_or_b32_e32 v12, v19, v12
	v_cmp_gt_i32_e32 vcc, 1, v13
	v_and_b32_e32 v14, 7, v4
	v_cndmask_b32_e32 v12, v17, v12, vcc
	v_cmp_lt_i32_e32 vcc, 5, v14
	v_cmp_eq_u32_e64 s[0:1], 3, v14
	v_lshrrev_b32_e32 v4, 2, v4
	v_and_b32_e32 v15, 7, v12
	s_or_b64 vcc, s[0:1], vcc
	v_cmp_lt_i32_e64 s[2:3], 5, v15
	v_cmp_eq_u32_e64 s[4:5], 3, v15
	v_addc_co_u32_e32 v4, vcc, 0, v4, vcc
	v_lshrrev_b32_e32 v12, 2, v12
	s_or_b64 vcc, s[4:5], s[2:3]
	v_addc_co_u32_e32 v12, vcc, 0, v12, vcc
	v_cmp_gt_i32_e32 vcc, 31, v6
	v_cndmask_b32_e32 v4, v3, v4, vcc
	v_cmp_gt_i32_e32 vcc, 31, v13
	v_lshl_or_b32 v1, v1, 9, v3
	v_cndmask_b32_e32 v12, v3, v12, vcc
	v_cmp_eq_u32_e32 vcc, s13, v6
	v_lshrrev_b32_e32 v7, 16, v7
	v_lshl_or_b32 v8, v8, 9, v3
	v_cndmask_b32_e32 v1, v4, v1, vcc
	v_cmp_eq_u32_e32 vcc, s13, v13
	v_lshrrev_b32_e32 v9, 16, v9
	v_cndmask_b32_e32 v4, v12, v8, vcc
	v_and_or_b32 v1, v7, s16, v1
	v_and_or_b32 v4, v9, s16, v4
	v_and_b32_e32 v1, 0xffff, v1
	v_lshl_or_b32 v1, v4, 16, v1
	global_store_dword v[10:11], v1, off
	global_load_dword v1, v[28:29], off offset:1900
	ds_read2_b32 v[4:5], v5 offset0:91 offset1:196
	v_add_co_u32_e32 v10, vcc, s10, v10
	v_addc_co_u32_e32 v11, vcc, v11, v0, vcc
	s_waitcnt lgkmcnt(0)
	v_lshrrev_b32_e32 v6, 16, v4
	s_waitcnt vmcnt(0)
	v_mul_f16_sdwa v7, v6, v1 dst_sel:DWORD dst_unused:UNUSED_PAD src0_sel:DWORD src1_sel:WORD_1
	v_fma_f16 v7, v4, v1, v7
	v_mul_f16_sdwa v4, v4, v1 dst_sel:DWORD dst_unused:UNUSED_PAD src0_sel:DWORD src1_sel:WORD_1
	v_cvt_f32_f16_e32 v7, v7
	v_fma_f16 v1, v1, v6, -v4
	v_cvt_f32_f16_e32 v1, v1
	v_cvt_f64_f32_e32 v[6:7], v7
	v_cvt_f64_f32_e32 v[8:9], v1
	v_mul_f64 v[6:7], v[6:7], s[6:7]
	v_mul_f64 v[8:9], v[8:9], s[6:7]
	v_and_or_b32 v1, v7, s17, v6
	v_cmp_ne_u32_e32 vcc, 0, v1
	v_and_or_b32 v8, v9, s17, v8
	v_lshrrev_b32_e32 v4, 8, v7
	v_bfe_u32 v6, v7, 20, 11
	v_cndmask_b32_e64 v1, 0, 1, vcc
	v_cmp_ne_u32_e32 vcc, 0, v8
	v_lshrrev_b32_e32 v12, 8, v9
	v_bfe_u32 v13, v9, 20, 11
	v_sub_u32_e32 v14, 0x3f1, v6
	v_cndmask_b32_e64 v8, 0, 1, vcc
	v_and_or_b32 v1, v4, s12, v1
	v_sub_u32_e32 v15, 0x3f1, v13
	v_med3_i32 v4, v14, 0, 13
	v_and_or_b32 v8, v12, s12, v8
	v_or_b32_e32 v14, 0x1000, v1
	v_add_u32_e32 v6, 0xfffffc10, v6
	v_med3_i32 v12, v15, 0, 13
	v_cmp_ne_u32_e32 vcc, 0, v1
	v_or_b32_e32 v16, 0x1000, v8
	v_lshrrev_b32_e32 v18, v4, v14
	v_add_u32_e32 v13, 0xfffffc10, v13
	v_lshl_or_b32 v15, v6, 12, v1
	v_cndmask_b32_e64 v1, 0, 1, vcc
	v_cmp_ne_u32_e32 vcc, 0, v8
	v_lshrrev_b32_e32 v19, v12, v16
	v_lshlrev_b32_e32 v4, v4, v18
	v_lshl_or_b32 v17, v13, 12, v8
	v_cndmask_b32_e64 v8, 0, 1, vcc
	v_lshlrev_b32_e32 v12, v12, v19
	v_cmp_ne_u32_e32 vcc, v4, v14
	v_cndmask_b32_e64 v4, 0, 1, vcc
	v_cmp_ne_u32_e32 vcc, v12, v16
	v_cndmask_b32_e64 v12, 0, 1, vcc
	v_or_b32_e32 v4, v18, v4
	v_cmp_gt_i32_e32 vcc, 1, v6
	v_cndmask_b32_e32 v4, v15, v4, vcc
	v_or_b32_e32 v12, v19, v12
	v_cmp_gt_i32_e32 vcc, 1, v13
	v_and_b32_e32 v14, 7, v4
	v_cndmask_b32_e32 v12, v17, v12, vcc
	v_cmp_lt_i32_e32 vcc, 5, v14
	v_cmp_eq_u32_e64 s[0:1], 3, v14
	v_lshrrev_b32_e32 v4, 2, v4
	v_and_b32_e32 v15, 7, v12
	s_or_b64 vcc, s[0:1], vcc
	v_cmp_lt_i32_e64 s[2:3], 5, v15
	v_cmp_eq_u32_e64 s[4:5], 3, v15
	v_addc_co_u32_e32 v4, vcc, 0, v4, vcc
	v_lshrrev_b32_e32 v12, 2, v12
	s_or_b64 vcc, s[4:5], s[2:3]
	v_addc_co_u32_e32 v12, vcc, 0, v12, vcc
	v_cmp_gt_i32_e32 vcc, 31, v6
	v_cndmask_b32_e32 v4, v3, v4, vcc
	v_cmp_gt_i32_e32 vcc, 31, v13
	v_lshl_or_b32 v1, v1, 9, v3
	v_cndmask_b32_e32 v12, v3, v12, vcc
	v_cmp_eq_u32_e32 vcc, s13, v6
	v_lshrrev_b32_e32 v7, 16, v7
	v_lshl_or_b32 v8, v8, 9, v3
	v_cndmask_b32_e32 v1, v4, v1, vcc
	v_cmp_eq_u32_e32 vcc, s13, v13
	v_lshrrev_b32_e32 v9, 16, v9
	v_cndmask_b32_e32 v4, v12, v8, vcc
	v_and_or_b32 v1, v7, s16, v1
	v_and_or_b32 v4, v9, s16, v4
	v_and_b32_e32 v1, 0xffff, v1
	v_lshl_or_b32 v1, v4, 16, v1
	global_store_dword v[10:11], v1, off
	global_load_dword v1, v[28:29], off offset:2320
	v_lshrrev_b32_e32 v4, 16, v5
	v_add_co_u32_e32 v8, vcc, s10, v10
	v_addc_co_u32_e32 v9, vcc, v11, v0, vcc
	s_waitcnt vmcnt(0)
	v_mul_f16_sdwa v6, v4, v1 dst_sel:DWORD dst_unused:UNUSED_PAD src0_sel:DWORD src1_sel:WORD_1
	v_fma_f16 v6, v5, v1, v6
	v_mul_f16_sdwa v5, v5, v1 dst_sel:DWORD dst_unused:UNUSED_PAD src0_sel:DWORD src1_sel:WORD_1
	v_cvt_f32_f16_e32 v6, v6
	v_fma_f16 v1, v1, v4, -v5
	v_cvt_f32_f16_e32 v1, v1
	v_cvt_f64_f32_e32 v[4:5], v6
	v_cvt_f64_f32_e32 v[6:7], v1
	v_mul_f64 v[4:5], v[4:5], s[6:7]
	v_mul_f64 v[6:7], v[6:7], s[6:7]
	v_and_or_b32 v1, v5, s17, v4
	v_cmp_ne_u32_e32 vcc, 0, v1
	v_and_or_b32 v6, v7, s17, v6
	v_lshrrev_b32_e32 v4, 8, v5
	v_bfe_u32 v10, v5, 20, 11
	v_cndmask_b32_e64 v1, 0, 1, vcc
	v_cmp_ne_u32_e32 vcc, 0, v6
	v_lshrrev_b32_e32 v11, 8, v7
	v_bfe_u32 v12, v7, 20, 11
	v_sub_u32_e32 v13, 0x3f1, v10
	v_cndmask_b32_e64 v6, 0, 1, vcc
	v_and_or_b32 v1, v4, s12, v1
	v_sub_u32_e32 v14, 0x3f1, v12
	v_med3_i32 v4, v13, 0, 13
	v_and_or_b32 v6, v11, s12, v6
	v_or_b32_e32 v13, 0x1000, v1
	v_add_u32_e32 v10, 0xfffffc10, v10
	v_med3_i32 v11, v14, 0, 13
	v_cmp_ne_u32_e32 vcc, 0, v1
	v_or_b32_e32 v15, 0x1000, v6
	v_lshrrev_b32_e32 v17, v4, v13
	v_add_u32_e32 v12, 0xfffffc10, v12
	v_lshl_or_b32 v14, v10, 12, v1
	v_cndmask_b32_e64 v1, 0, 1, vcc
	v_cmp_ne_u32_e32 vcc, 0, v6
	v_lshrrev_b32_e32 v18, v11, v15
	v_lshlrev_b32_e32 v4, v4, v17
	v_lshl_or_b32 v16, v12, 12, v6
	v_cndmask_b32_e64 v6, 0, 1, vcc
	v_lshlrev_b32_e32 v11, v11, v18
	v_cmp_ne_u32_e32 vcc, v4, v13
	v_cndmask_b32_e64 v4, 0, 1, vcc
	v_cmp_ne_u32_e32 vcc, v11, v15
	v_cndmask_b32_e64 v11, 0, 1, vcc
	v_or_b32_e32 v4, v17, v4
	v_cmp_gt_i32_e32 vcc, 1, v10
	v_cndmask_b32_e32 v4, v14, v4, vcc
	v_or_b32_e32 v11, v18, v11
	v_cmp_gt_i32_e32 vcc, 1, v12
	v_and_b32_e32 v13, 7, v4
	v_cndmask_b32_e32 v11, v16, v11, vcc
	v_cmp_lt_i32_e32 vcc, 5, v13
	v_cmp_eq_u32_e64 s[0:1], 3, v13
	v_lshrrev_b32_e32 v4, 2, v4
	v_and_b32_e32 v14, 7, v11
	s_or_b64 vcc, s[0:1], vcc
	v_cmp_lt_i32_e64 s[2:3], 5, v14
	v_cmp_eq_u32_e64 s[4:5], 3, v14
	v_addc_co_u32_e32 v4, vcc, 0, v4, vcc
	v_lshrrev_b32_e32 v11, 2, v11
	s_or_b64 vcc, s[4:5], s[2:3]
	v_addc_co_u32_e32 v11, vcc, 0, v11, vcc
	v_cmp_gt_i32_e32 vcc, 31, v10
	v_cndmask_b32_e32 v4, v3, v4, vcc
	v_cmp_gt_i32_e32 vcc, 31, v12
	v_lshl_or_b32 v1, v1, 9, v3
	v_cndmask_b32_e32 v11, v3, v11, vcc
	v_cmp_eq_u32_e32 vcc, s13, v10
	v_lshrrev_b32_e32 v5, 16, v5
	v_lshl_or_b32 v6, v6, 9, v3
	v_cndmask_b32_e32 v1, v4, v1, vcc
	v_cmp_eq_u32_e32 vcc, s13, v12
	v_lshrrev_b32_e32 v7, 16, v7
	v_cndmask_b32_e32 v4, v11, v6, vcc
	v_and_or_b32 v1, v5, s16, v1
	v_and_or_b32 v4, v7, s16, v4
	v_and_b32_e32 v1, 0xffff, v1
	v_lshl_or_b32 v1, v4, 16, v1
	global_store_dword v[8:9], v1, off
	global_load_dword v1, v[28:29], off offset:2740
	v_add_u32_e32 v4, 0xa00, v73
	ds_read2_b32 v[4:5], v4 offset0:45 offset1:150
	v_add_co_u32_e32 v8, vcc, s10, v8
	v_addc_co_u32_e32 v9, vcc, v9, v0, vcc
	s_waitcnt lgkmcnt(0)
	v_lshrrev_b32_e32 v6, 16, v4
	s_waitcnt vmcnt(0)
	v_mul_f16_sdwa v7, v6, v1 dst_sel:DWORD dst_unused:UNUSED_PAD src0_sel:DWORD src1_sel:WORD_1
	v_fma_f16 v7, v4, v1, v7
	v_mul_f16_sdwa v4, v4, v1 dst_sel:DWORD dst_unused:UNUSED_PAD src0_sel:DWORD src1_sel:WORD_1
	v_cvt_f32_f16_e32 v7, v7
	v_fma_f16 v1, v1, v6, -v4
	v_cvt_f32_f16_e32 v1, v1
	v_cvt_f64_f32_e32 v[6:7], v7
	v_cvt_f64_f32_e32 v[10:11], v1
	v_mul_f64 v[6:7], v[6:7], s[6:7]
	v_mul_f64 v[10:11], v[10:11], s[6:7]
	v_and_or_b32 v1, v7, s17, v6
	v_cmp_ne_u32_e32 vcc, 0, v1
	v_and_or_b32 v10, v11, s17, v10
	v_lshrrev_b32_e32 v4, 8, v7
	v_bfe_u32 v6, v7, 20, 11
	v_cndmask_b32_e64 v1, 0, 1, vcc
	v_cmp_ne_u32_e32 vcc, 0, v10
	v_lshrrev_b32_e32 v12, 8, v11
	v_bfe_u32 v13, v11, 20, 11
	v_sub_u32_e32 v14, 0x3f1, v6
	v_cndmask_b32_e64 v10, 0, 1, vcc
	v_and_or_b32 v1, v4, s12, v1
	v_sub_u32_e32 v15, 0x3f1, v13
	v_med3_i32 v4, v14, 0, 13
	v_and_or_b32 v10, v12, s12, v10
	v_or_b32_e32 v14, 0x1000, v1
	v_add_u32_e32 v6, 0xfffffc10, v6
	v_med3_i32 v12, v15, 0, 13
	v_cmp_ne_u32_e32 vcc, 0, v1
	v_or_b32_e32 v16, 0x1000, v10
	v_lshrrev_b32_e32 v18, v4, v14
	v_add_u32_e32 v13, 0xfffffc10, v13
	v_lshl_or_b32 v15, v6, 12, v1
	v_cndmask_b32_e64 v1, 0, 1, vcc
	v_cmp_ne_u32_e32 vcc, 0, v10
	v_lshrrev_b32_e32 v19, v12, v16
	v_lshlrev_b32_e32 v4, v4, v18
	v_lshl_or_b32 v17, v13, 12, v10
	v_cndmask_b32_e64 v10, 0, 1, vcc
	v_lshlrev_b32_e32 v12, v12, v19
	v_cmp_ne_u32_e32 vcc, v4, v14
	v_cndmask_b32_e64 v4, 0, 1, vcc
	v_cmp_ne_u32_e32 vcc, v12, v16
	v_cndmask_b32_e64 v12, 0, 1, vcc
	v_or_b32_e32 v4, v18, v4
	v_cmp_gt_i32_e32 vcc, 1, v6
	v_cndmask_b32_e32 v4, v15, v4, vcc
	v_or_b32_e32 v12, v19, v12
	v_cmp_gt_i32_e32 vcc, 1, v13
	v_and_b32_e32 v14, 7, v4
	v_cndmask_b32_e32 v12, v17, v12, vcc
	v_cmp_lt_i32_e32 vcc, 5, v14
	v_cmp_eq_u32_e64 s[0:1], 3, v14
	v_lshrrev_b32_e32 v4, 2, v4
	v_and_b32_e32 v15, 7, v12
	s_or_b64 vcc, s[0:1], vcc
	v_cmp_lt_i32_e64 s[2:3], 5, v15
	v_cmp_eq_u32_e64 s[4:5], 3, v15
	v_addc_co_u32_e32 v4, vcc, 0, v4, vcc
	v_lshrrev_b32_e32 v12, 2, v12
	s_or_b64 vcc, s[4:5], s[2:3]
	v_addc_co_u32_e32 v12, vcc, 0, v12, vcc
	v_cmp_gt_i32_e32 vcc, 31, v6
	v_cndmask_b32_e32 v4, v3, v4, vcc
	v_cmp_gt_i32_e32 vcc, 31, v13
	v_lshl_or_b32 v1, v1, 9, v3
	v_cndmask_b32_e32 v12, v3, v12, vcc
	v_cmp_eq_u32_e32 vcc, s13, v6
	v_lshrrev_b32_e32 v7, 16, v7
	v_lshl_or_b32 v10, v10, 9, v3
	v_cndmask_b32_e32 v1, v4, v1, vcc
	v_cmp_eq_u32_e32 vcc, s13, v13
	v_lshrrev_b32_e32 v11, 16, v11
	v_cndmask_b32_e32 v4, v12, v10, vcc
	v_and_or_b32 v1, v7, s16, v1
	v_and_or_b32 v4, v11, s16, v4
	v_and_b32_e32 v1, 0xffff, v1
	v_lshl_or_b32 v1, v4, 16, v1
	global_store_dword v[8:9], v1, off
	global_load_dword v1, v[28:29], off offset:3160
	v_lshrrev_b32_e32 v4, 16, v5
	v_add_co_u32_e32 v8, vcc, s10, v8
	v_addc_co_u32_e32 v9, vcc, v9, v0, vcc
	s_waitcnt vmcnt(0)
	v_mul_f16_sdwa v6, v4, v1 dst_sel:DWORD dst_unused:UNUSED_PAD src0_sel:DWORD src1_sel:WORD_1
	v_fma_f16 v6, v5, v1, v6
	v_mul_f16_sdwa v5, v5, v1 dst_sel:DWORD dst_unused:UNUSED_PAD src0_sel:DWORD src1_sel:WORD_1
	v_cvt_f32_f16_e32 v6, v6
	v_fma_f16 v1, v1, v4, -v5
	v_cvt_f32_f16_e32 v1, v1
	v_cvt_f64_f32_e32 v[4:5], v6
	v_cvt_f64_f32_e32 v[6:7], v1
	v_mul_f64 v[4:5], v[4:5], s[6:7]
	v_mul_f64 v[6:7], v[6:7], s[6:7]
	v_and_or_b32 v1, v5, s17, v4
	v_cmp_ne_u32_e32 vcc, 0, v1
	v_and_or_b32 v6, v7, s17, v6
	v_lshrrev_b32_e32 v4, 8, v5
	v_bfe_u32 v10, v5, 20, 11
	v_cndmask_b32_e64 v1, 0, 1, vcc
	v_cmp_ne_u32_e32 vcc, 0, v6
	v_lshrrev_b32_e32 v11, 8, v7
	v_bfe_u32 v12, v7, 20, 11
	v_sub_u32_e32 v13, 0x3f1, v10
	v_cndmask_b32_e64 v6, 0, 1, vcc
	v_and_or_b32 v1, v4, s12, v1
	v_sub_u32_e32 v14, 0x3f1, v12
	v_med3_i32 v4, v13, 0, 13
	v_and_or_b32 v6, v11, s12, v6
	v_or_b32_e32 v13, 0x1000, v1
	v_add_u32_e32 v10, 0xfffffc10, v10
	v_med3_i32 v11, v14, 0, 13
	v_cmp_ne_u32_e32 vcc, 0, v1
	v_or_b32_e32 v15, 0x1000, v6
	v_lshrrev_b32_e32 v17, v4, v13
	v_add_u32_e32 v12, 0xfffffc10, v12
	v_lshl_or_b32 v14, v10, 12, v1
	v_cndmask_b32_e64 v1, 0, 1, vcc
	v_cmp_ne_u32_e32 vcc, 0, v6
	v_lshrrev_b32_e32 v18, v11, v15
	v_lshlrev_b32_e32 v4, v4, v17
	v_lshl_or_b32 v16, v12, 12, v6
	v_cndmask_b32_e64 v6, 0, 1, vcc
	v_lshlrev_b32_e32 v11, v11, v18
	v_cmp_ne_u32_e32 vcc, v4, v13
	v_cndmask_b32_e64 v4, 0, 1, vcc
	v_cmp_ne_u32_e32 vcc, v11, v15
	v_cndmask_b32_e64 v11, 0, 1, vcc
	v_or_b32_e32 v4, v17, v4
	v_cmp_gt_i32_e32 vcc, 1, v10
	v_cndmask_b32_e32 v4, v14, v4, vcc
	v_or_b32_e32 v11, v18, v11
	v_cmp_gt_i32_e32 vcc, 1, v12
	v_and_b32_e32 v13, 7, v4
	v_cndmask_b32_e32 v11, v16, v11, vcc
	v_cmp_lt_i32_e32 vcc, 5, v13
	v_cmp_eq_u32_e64 s[0:1], 3, v13
	v_lshrrev_b32_e32 v4, 2, v4
	v_and_b32_e32 v14, 7, v11
	s_or_b64 vcc, s[0:1], vcc
	v_cmp_lt_i32_e64 s[2:3], 5, v14
	v_cmp_eq_u32_e64 s[4:5], 3, v14
	v_addc_co_u32_e32 v4, vcc, 0, v4, vcc
	v_lshrrev_b32_e32 v11, 2, v11
	s_or_b64 vcc, s[4:5], s[2:3]
	v_addc_co_u32_e32 v11, vcc, 0, v11, vcc
	v_cmp_gt_i32_e32 vcc, 31, v10
	v_cndmask_b32_e32 v4, v3, v4, vcc
	v_cmp_gt_i32_e32 vcc, 31, v12
	v_lshl_or_b32 v1, v1, 9, v3
	v_cndmask_b32_e32 v11, v3, v11, vcc
	v_cmp_eq_u32_e32 vcc, s13, v10
	v_lshrrev_b32_e32 v5, 16, v5
	v_lshl_or_b32 v6, v6, 9, v3
	v_cndmask_b32_e32 v1, v4, v1, vcc
	v_cmp_eq_u32_e32 vcc, s13, v12
	v_lshrrev_b32_e32 v7, 16, v7
	v_cndmask_b32_e32 v4, v11, v6, vcc
	v_and_or_b32 v1, v5, s16, v1
	v_and_or_b32 v4, v7, s16, v4
	v_and_b32_e32 v1, 0xffff, v1
	v_lshl_or_b32 v1, v4, 16, v1
	global_store_dword v[8:9], v1, off
	global_load_dword v4, v[28:29], off offset:3580
	ds_read2_b32 v[1:2], v2 offset0:127 offset1:232
	v_add_co_u32_e32 v8, vcc, s10, v8
	v_addc_co_u32_e32 v9, vcc, v9, v0, vcc
	s_waitcnt lgkmcnt(0)
	v_lshrrev_b32_e32 v5, 16, v1
	s_waitcnt vmcnt(0)
	v_mul_f16_sdwa v6, v5, v4 dst_sel:DWORD dst_unused:UNUSED_PAD src0_sel:DWORD src1_sel:WORD_1
	v_fma_f16 v6, v1, v4, v6
	v_mul_f16_sdwa v1, v1, v4 dst_sel:DWORD dst_unused:UNUSED_PAD src0_sel:DWORD src1_sel:WORD_1
	v_cvt_f32_f16_e32 v6, v6
	v_fma_f16 v1, v4, v5, -v1
	v_cvt_f32_f16_e32 v1, v1
	v_cvt_f64_f32_e32 v[4:5], v6
	v_cvt_f64_f32_e32 v[6:7], v1
	v_mul_f64 v[4:5], v[4:5], s[6:7]
	v_mul_f64 v[6:7], v[6:7], s[6:7]
	v_and_or_b32 v1, v5, s17, v4
	v_cmp_ne_u32_e32 vcc, 0, v1
	v_and_or_b32 v6, v7, s17, v6
	v_lshrrev_b32_e32 v4, 8, v5
	v_bfe_u32 v10, v5, 20, 11
	v_cndmask_b32_e64 v1, 0, 1, vcc
	v_cmp_ne_u32_e32 vcc, 0, v6
	v_lshrrev_b32_e32 v11, 8, v7
	v_bfe_u32 v12, v7, 20, 11
	v_sub_u32_e32 v13, 0x3f1, v10
	v_cndmask_b32_e64 v6, 0, 1, vcc
	v_and_or_b32 v1, v4, s12, v1
	v_sub_u32_e32 v14, 0x3f1, v12
	v_med3_i32 v4, v13, 0, 13
	v_and_or_b32 v6, v11, s12, v6
	v_or_b32_e32 v13, 0x1000, v1
	v_add_u32_e32 v10, 0xfffffc10, v10
	v_med3_i32 v11, v14, 0, 13
	v_cmp_ne_u32_e32 vcc, 0, v1
	v_or_b32_e32 v15, 0x1000, v6
	v_lshrrev_b32_e32 v17, v4, v13
	v_add_u32_e32 v12, 0xfffffc10, v12
	v_lshl_or_b32 v14, v10, 12, v1
	v_cndmask_b32_e64 v1, 0, 1, vcc
	v_cmp_ne_u32_e32 vcc, 0, v6
	v_lshrrev_b32_e32 v18, v11, v15
	v_lshlrev_b32_e32 v4, v4, v17
	v_lshl_or_b32 v16, v12, 12, v6
	v_cndmask_b32_e64 v6, 0, 1, vcc
	v_lshlrev_b32_e32 v11, v11, v18
	v_cmp_ne_u32_e32 vcc, v4, v13
	v_cndmask_b32_e64 v4, 0, 1, vcc
	v_cmp_ne_u32_e32 vcc, v11, v15
	v_cndmask_b32_e64 v11, 0, 1, vcc
	v_or_b32_e32 v4, v17, v4
	v_cmp_gt_i32_e32 vcc, 1, v10
	v_cndmask_b32_e32 v4, v14, v4, vcc
	v_or_b32_e32 v11, v18, v11
	v_cmp_gt_i32_e32 vcc, 1, v12
	v_and_b32_e32 v13, 7, v4
	v_cndmask_b32_e32 v11, v16, v11, vcc
	v_cmp_lt_i32_e32 vcc, 5, v13
	v_cmp_eq_u32_e64 s[0:1], 3, v13
	v_lshrrev_b32_e32 v4, 2, v4
	v_and_b32_e32 v14, 7, v11
	s_or_b64 vcc, s[0:1], vcc
	v_cmp_lt_i32_e64 s[2:3], 5, v14
	v_cmp_eq_u32_e64 s[4:5], 3, v14
	v_addc_co_u32_e32 v4, vcc, 0, v4, vcc
	v_lshrrev_b32_e32 v11, 2, v11
	s_or_b64 vcc, s[4:5], s[2:3]
	v_addc_co_u32_e32 v11, vcc, 0, v11, vcc
	v_cmp_gt_i32_e32 vcc, 31, v10
	v_cndmask_b32_e32 v4, v3, v4, vcc
	v_cmp_gt_i32_e32 vcc, 31, v12
	v_lshl_or_b32 v1, v1, 9, v3
	v_cndmask_b32_e32 v11, v3, v11, vcc
	v_cmp_eq_u32_e32 vcc, s13, v10
	v_lshrrev_b32_e32 v5, 16, v5
	v_lshl_or_b32 v6, v6, 9, v3
	v_cndmask_b32_e32 v1, v4, v1, vcc
	v_cmp_eq_u32_e32 vcc, s13, v12
	v_lshrrev_b32_e32 v7, 16, v7
	v_cndmask_b32_e32 v4, v11, v6, vcc
	v_and_or_b32 v1, v5, s16, v1
	v_and_or_b32 v4, v7, s16, v4
	v_and_b32_e32 v1, 0xffff, v1
	v_lshl_or_b32 v1, v4, 16, v1
	global_store_dword v[8:9], v1, off
	global_load_dword v1, v[28:29], off offset:4000
	v_lshrrev_b32_e32 v4, 16, v2
	v_add_co_u32_e32 v6, vcc, s18, v28
	v_addc_co_u32_e32 v7, vcc, 0, v29, vcc
	v_add_co_u32_e32 v8, vcc, s10, v8
	v_addc_co_u32_e32 v9, vcc, v9, v0, vcc
	s_waitcnt vmcnt(0)
	v_mul_f16_sdwa v5, v4, v1 dst_sel:DWORD dst_unused:UNUSED_PAD src0_sel:DWORD src1_sel:WORD_1
	v_fma_f16 v5, v2, v1, v5
	v_mul_f16_sdwa v2, v2, v1 dst_sel:DWORD dst_unused:UNUSED_PAD src0_sel:DWORD src1_sel:WORD_1
	v_cvt_f32_f16_e32 v5, v5
	v_fma_f16 v1, v1, v4, -v2
	v_cvt_f32_f16_e32 v4, v1
	v_cvt_f64_f32_e32 v[1:2], v5
	v_cvt_f64_f32_e32 v[4:5], v4
	v_mul_f64 v[1:2], v[1:2], s[6:7]
	v_mul_f64 v[4:5], v[4:5], s[6:7]
	v_and_or_b32 v1, v2, s17, v1
	v_cmp_ne_u32_e32 vcc, 0, v1
	v_and_or_b32 v4, v5, s17, v4
	v_lshrrev_b32_e32 v10, 8, v2
	v_bfe_u32 v11, v2, 20, 11
	v_cndmask_b32_e64 v1, 0, 1, vcc
	v_cmp_ne_u32_e32 vcc, 0, v4
	v_lshrrev_b32_e32 v12, 8, v5
	v_bfe_u32 v13, v5, 20, 11
	v_sub_u32_e32 v14, 0x3f1, v11
	v_cndmask_b32_e64 v4, 0, 1, vcc
	v_and_or_b32 v1, v10, s12, v1
	v_sub_u32_e32 v15, 0x3f1, v13
	v_med3_i32 v10, v14, 0, 13
	v_and_or_b32 v4, v12, s12, v4
	v_or_b32_e32 v14, 0x1000, v1
	v_add_u32_e32 v11, 0xfffffc10, v11
	v_med3_i32 v12, v15, 0, 13
	v_cmp_ne_u32_e32 vcc, 0, v1
	v_or_b32_e32 v16, 0x1000, v4
	v_lshrrev_b32_e32 v18, v10, v14
	v_add_u32_e32 v13, 0xfffffc10, v13
	v_lshl_or_b32 v15, v11, 12, v1
	v_cndmask_b32_e64 v1, 0, 1, vcc
	v_cmp_ne_u32_e32 vcc, 0, v4
	v_lshrrev_b32_e32 v19, v12, v16
	v_lshlrev_b32_e32 v10, v10, v18
	v_lshl_or_b32 v17, v13, 12, v4
	v_cndmask_b32_e64 v4, 0, 1, vcc
	v_lshlrev_b32_e32 v12, v12, v19
	v_cmp_ne_u32_e32 vcc, v10, v14
	v_cndmask_b32_e64 v10, 0, 1, vcc
	v_cmp_ne_u32_e32 vcc, v12, v16
	v_cndmask_b32_e64 v12, 0, 1, vcc
	v_or_b32_e32 v10, v18, v10
	v_cmp_gt_i32_e32 vcc, 1, v11
	v_cndmask_b32_e32 v10, v15, v10, vcc
	v_or_b32_e32 v12, v19, v12
	v_cmp_gt_i32_e32 vcc, 1, v13
	v_and_b32_e32 v14, 7, v10
	v_cndmask_b32_e32 v12, v17, v12, vcc
	v_cmp_lt_i32_e32 vcc, 5, v14
	v_cmp_eq_u32_e64 s[0:1], 3, v14
	v_lshrrev_b32_e32 v10, 2, v10
	v_and_b32_e32 v15, 7, v12
	s_or_b64 vcc, s[0:1], vcc
	v_cmp_lt_i32_e64 s[2:3], 5, v15
	v_cmp_eq_u32_e64 s[4:5], 3, v15
	v_addc_co_u32_e32 v10, vcc, 0, v10, vcc
	v_lshrrev_b32_e32 v12, 2, v12
	s_or_b64 vcc, s[4:5], s[2:3]
	v_addc_co_u32_e32 v12, vcc, 0, v12, vcc
	v_cmp_gt_i32_e32 vcc, 31, v11
	v_cndmask_b32_e32 v10, v3, v10, vcc
	v_cmp_gt_i32_e32 vcc, 31, v13
	v_lshl_or_b32 v1, v1, 9, v3
	v_cndmask_b32_e32 v12, v3, v12, vcc
	v_cmp_eq_u32_e32 vcc, s13, v11
	v_lshrrev_b32_e32 v2, 16, v2
	v_lshl_or_b32 v4, v4, 9, v3
	v_cndmask_b32_e32 v1, v10, v1, vcc
	v_cmp_eq_u32_e32 vcc, s13, v13
	v_lshrrev_b32_e32 v5, 16, v5
	v_cndmask_b32_e32 v4, v12, v4, vcc
	v_and_or_b32 v1, v2, s16, v1
	v_and_or_b32 v2, v5, s16, v4
	v_and_b32_e32 v1, 0xffff, v1
	v_lshl_or_b32 v1, v2, 16, v1
	global_store_dword v[8:9], v1, off
	global_load_dword v1, v[6:7], off offset:324
	ds_read_b32 v2, v73 offset:4420
	s_waitcnt lgkmcnt(0)
	v_lshrrev_b32_e32 v4, 16, v2
	s_waitcnt vmcnt(0)
	v_mul_f16_sdwa v5, v4, v1 dst_sel:DWORD dst_unused:UNUSED_PAD src0_sel:DWORD src1_sel:WORD_1
	v_fma_f16 v5, v2, v1, v5
	v_mul_f16_sdwa v2, v2, v1 dst_sel:DWORD dst_unused:UNUSED_PAD src0_sel:DWORD src1_sel:WORD_1
	v_cvt_f32_f16_e32 v5, v5
	v_fma_f16 v1, v1, v4, -v2
	v_cvt_f32_f16_e32 v4, v1
	v_cvt_f64_f32_e32 v[1:2], v5
	v_cvt_f64_f32_e32 v[4:5], v4
	v_mul_f64 v[1:2], v[1:2], s[6:7]
	v_mul_f64 v[4:5], v[4:5], s[6:7]
	v_and_or_b32 v1, v2, s17, v1
	v_cmp_ne_u32_e32 vcc, 0, v1
	v_and_or_b32 v4, v5, s17, v4
	v_lshrrev_b32_e32 v6, 8, v2
	v_bfe_u32 v7, v2, 20, 11
	v_cndmask_b32_e64 v1, 0, 1, vcc
	v_cmp_ne_u32_e32 vcc, 0, v4
	v_lshrrev_b32_e32 v10, 8, v5
	v_bfe_u32 v11, v5, 20, 11
	v_sub_u32_e32 v12, 0x3f1, v7
	v_cndmask_b32_e64 v4, 0, 1, vcc
	v_and_or_b32 v1, v6, s12, v1
	v_sub_u32_e32 v13, 0x3f1, v11
	v_med3_i32 v6, v12, 0, 13
	v_and_or_b32 v4, v10, s12, v4
	v_or_b32_e32 v12, 0x1000, v1
	v_add_u32_e32 v7, 0xfffffc10, v7
	v_med3_i32 v10, v13, 0, 13
	v_cmp_ne_u32_e32 vcc, 0, v1
	v_or_b32_e32 v14, 0x1000, v4
	v_lshrrev_b32_e32 v16, v6, v12
	v_add_u32_e32 v11, 0xfffffc10, v11
	v_lshl_or_b32 v13, v7, 12, v1
	v_cndmask_b32_e64 v1, 0, 1, vcc
	v_cmp_ne_u32_e32 vcc, 0, v4
	v_lshrrev_b32_e32 v17, v10, v14
	v_lshlrev_b32_e32 v6, v6, v16
	v_lshl_or_b32 v15, v11, 12, v4
	v_cndmask_b32_e64 v4, 0, 1, vcc
	v_lshlrev_b32_e32 v10, v10, v17
	v_cmp_ne_u32_e32 vcc, v6, v12
	v_cndmask_b32_e64 v6, 0, 1, vcc
	v_cmp_ne_u32_e32 vcc, v10, v14
	v_cndmask_b32_e64 v10, 0, 1, vcc
	v_or_b32_e32 v6, v16, v6
	v_cmp_gt_i32_e32 vcc, 1, v7
	v_cndmask_b32_e32 v6, v13, v6, vcc
	v_or_b32_e32 v10, v17, v10
	v_cmp_gt_i32_e32 vcc, 1, v11
	v_and_b32_e32 v12, 7, v6
	v_cndmask_b32_e32 v10, v15, v10, vcc
	v_cmp_lt_i32_e32 vcc, 5, v12
	v_cmp_eq_u32_e64 s[0:1], 3, v12
	v_lshrrev_b32_e32 v6, 2, v6
	v_and_b32_e32 v13, 7, v10
	s_or_b64 vcc, s[0:1], vcc
	v_cmp_lt_i32_e64 s[2:3], 5, v13
	v_cmp_eq_u32_e64 s[4:5], 3, v13
	v_addc_co_u32_e32 v6, vcc, 0, v6, vcc
	v_lshrrev_b32_e32 v10, 2, v10
	s_or_b64 vcc, s[4:5], s[2:3]
	v_addc_co_u32_e32 v10, vcc, 0, v10, vcc
	v_cmp_gt_i32_e32 vcc, 31, v7
	v_cndmask_b32_e32 v6, v3, v6, vcc
	v_cmp_gt_i32_e32 vcc, 31, v11
	v_lshl_or_b32 v1, v1, 9, v3
	v_lshl_or_b32 v4, v4, 9, v3
	v_cndmask_b32_e32 v3, v3, v10, vcc
	v_cmp_eq_u32_e32 vcc, s13, v7
	v_lshrrev_b32_e32 v2, 16, v2
	v_cndmask_b32_e32 v1, v6, v1, vcc
	v_cmp_eq_u32_e32 vcc, s13, v11
	v_lshrrev_b32_e32 v5, 16, v5
	v_cndmask_b32_e32 v3, v3, v4, vcc
	v_and_or_b32 v1, v2, s16, v1
	v_and_or_b32 v2, v5, s16, v3
	v_and_b32_e32 v1, 0xffff, v1
	v_lshl_or_b32 v3, v2, 16, v1
	v_add_co_u32_e32 v1, vcc, s10, v8
	v_addc_co_u32_e32 v2, vcc, v9, v0, vcc
	global_store_dword v[1:2], v3, off
.LBB0_23:
	s_endpgm
	.section	.rodata,"a",@progbits
	.p2align	6, 0x0
	.amdhsa_kernel bluestein_single_fwd_len1155_dim1_half_op_CI_CI
		.amdhsa_group_segment_fixed_size 4620
		.amdhsa_private_segment_fixed_size 0
		.amdhsa_kernarg_size 104
		.amdhsa_user_sgpr_count 6
		.amdhsa_user_sgpr_private_segment_buffer 1
		.amdhsa_user_sgpr_dispatch_ptr 0
		.amdhsa_user_sgpr_queue_ptr 0
		.amdhsa_user_sgpr_kernarg_segment_ptr 1
		.amdhsa_user_sgpr_dispatch_id 0
		.amdhsa_user_sgpr_flat_scratch_init 0
		.amdhsa_user_sgpr_private_segment_size 0
		.amdhsa_uses_dynamic_stack 0
		.amdhsa_system_sgpr_private_segment_wavefront_offset 0
		.amdhsa_system_sgpr_workgroup_id_x 1
		.amdhsa_system_sgpr_workgroup_id_y 0
		.amdhsa_system_sgpr_workgroup_id_z 0
		.amdhsa_system_sgpr_workgroup_info 0
		.amdhsa_system_vgpr_workitem_id 0
		.amdhsa_next_free_vgpr 186
		.amdhsa_next_free_sgpr 39
		.amdhsa_reserve_vcc 1
		.amdhsa_reserve_flat_scratch 0
		.amdhsa_float_round_mode_32 0
		.amdhsa_float_round_mode_16_64 0
		.amdhsa_float_denorm_mode_32 3
		.amdhsa_float_denorm_mode_16_64 3
		.amdhsa_dx10_clamp 1
		.amdhsa_ieee_mode 1
		.amdhsa_fp16_overflow 0
		.amdhsa_exception_fp_ieee_invalid_op 0
		.amdhsa_exception_fp_denorm_src 0
		.amdhsa_exception_fp_ieee_div_zero 0
		.amdhsa_exception_fp_ieee_overflow 0
		.amdhsa_exception_fp_ieee_underflow 0
		.amdhsa_exception_fp_ieee_inexact 0
		.amdhsa_exception_int_div_zero 0
	.end_amdhsa_kernel
	.text
.Lfunc_end0:
	.size	bluestein_single_fwd_len1155_dim1_half_op_CI_CI, .Lfunc_end0-bluestein_single_fwd_len1155_dim1_half_op_CI_CI
                                        ; -- End function
	.section	.AMDGPU.csdata,"",@progbits
; Kernel info:
; codeLenInByte = 37748
; NumSgprs: 43
; NumVgprs: 186
; ScratchSize: 0
; MemoryBound: 0
; FloatMode: 240
; IeeeMode: 1
; LDSByteSize: 4620 bytes/workgroup (compile time only)
; SGPRBlocks: 5
; VGPRBlocks: 46
; NumSGPRsForWavesPerEU: 43
; NumVGPRsForWavesPerEU: 186
; Occupancy: 1
; WaveLimiterHint : 1
; COMPUTE_PGM_RSRC2:SCRATCH_EN: 0
; COMPUTE_PGM_RSRC2:USER_SGPR: 6
; COMPUTE_PGM_RSRC2:TRAP_HANDLER: 0
; COMPUTE_PGM_RSRC2:TGID_X_EN: 1
; COMPUTE_PGM_RSRC2:TGID_Y_EN: 0
; COMPUTE_PGM_RSRC2:TGID_Z_EN: 0
; COMPUTE_PGM_RSRC2:TIDIG_COMP_CNT: 0
	.type	__hip_cuid_26e77b454edec07a,@object ; @__hip_cuid_26e77b454edec07a
	.section	.bss,"aw",@nobits
	.globl	__hip_cuid_26e77b454edec07a
__hip_cuid_26e77b454edec07a:
	.byte	0                               ; 0x0
	.size	__hip_cuid_26e77b454edec07a, 1

	.ident	"AMD clang version 19.0.0git (https://github.com/RadeonOpenCompute/llvm-project roc-6.4.0 25133 c7fe45cf4b819c5991fe208aaa96edf142730f1d)"
	.section	".note.GNU-stack","",@progbits
	.addrsig
	.addrsig_sym __hip_cuid_26e77b454edec07a
	.amdgpu_metadata
---
amdhsa.kernels:
  - .args:
      - .actual_access:  read_only
        .address_space:  global
        .offset:         0
        .size:           8
        .value_kind:     global_buffer
      - .actual_access:  read_only
        .address_space:  global
        .offset:         8
        .size:           8
        .value_kind:     global_buffer
      - .actual_access:  read_only
        .address_space:  global
        .offset:         16
        .size:           8
        .value_kind:     global_buffer
      - .actual_access:  read_only
        .address_space:  global
        .offset:         24
        .size:           8
        .value_kind:     global_buffer
      - .actual_access:  read_only
        .address_space:  global
        .offset:         32
        .size:           8
        .value_kind:     global_buffer
      - .offset:         40
        .size:           8
        .value_kind:     by_value
      - .address_space:  global
        .offset:         48
        .size:           8
        .value_kind:     global_buffer
      - .address_space:  global
        .offset:         56
        .size:           8
        .value_kind:     global_buffer
      - .address_space:  global
        .offset:         64
        .size:           8
        .value_kind:     global_buffer
      - .address_space:  global
        .offset:         72
        .size:           8
        .value_kind:     global_buffer
      - .offset:         80
        .size:           4
        .value_kind:     by_value
      - .address_space:  global
        .offset:         88
        .size:           8
        .value_kind:     global_buffer
      - .address_space:  global
        .offset:         96
        .size:           8
        .value_kind:     global_buffer
    .group_segment_fixed_size: 4620
    .kernarg_segment_align: 8
    .kernarg_segment_size: 104
    .language:       OpenCL C
    .language_version:
      - 2
      - 0
    .max_flat_workgroup_size: 55
    .name:           bluestein_single_fwd_len1155_dim1_half_op_CI_CI
    .private_segment_fixed_size: 0
    .sgpr_count:     43
    .sgpr_spill_count: 0
    .symbol:         bluestein_single_fwd_len1155_dim1_half_op_CI_CI.kd
    .uniform_work_group_size: 1
    .uses_dynamic_stack: false
    .vgpr_count:     186
    .vgpr_spill_count: 0
    .wavefront_size: 64
amdhsa.target:   amdgcn-amd-amdhsa--gfx906
amdhsa.version:
  - 1
  - 2
...

	.end_amdgpu_metadata
